;; amdgpu-corpus repo=ROCm/rocFFT kind=compiled arch=gfx1030 opt=O3
	.text
	.amdgcn_target "amdgcn-amd-amdhsa--gfx1030"
	.amdhsa_code_object_version 6
	.protected	fft_rtc_fwd_len2000_factors_5_5_5_16_wgs_125_tpt_125_halfLds_half_op_CI_CI_unitstride_sbrr_C2R_dirReg ; -- Begin function fft_rtc_fwd_len2000_factors_5_5_5_16_wgs_125_tpt_125_halfLds_half_op_CI_CI_unitstride_sbrr_C2R_dirReg
	.globl	fft_rtc_fwd_len2000_factors_5_5_5_16_wgs_125_tpt_125_halfLds_half_op_CI_CI_unitstride_sbrr_C2R_dirReg
	.p2align	8
	.type	fft_rtc_fwd_len2000_factors_5_5_5_16_wgs_125_tpt_125_halfLds_half_op_CI_CI_unitstride_sbrr_C2R_dirReg,@function
fft_rtc_fwd_len2000_factors_5_5_5_16_wgs_125_tpt_125_halfLds_half_op_CI_CI_unitstride_sbrr_C2R_dirReg: ; @fft_rtc_fwd_len2000_factors_5_5_5_16_wgs_125_tpt_125_halfLds_half_op_CI_CI_unitstride_sbrr_C2R_dirReg
; %bb.0:
	s_clause 0x2
	s_load_dwordx4 s[12:15], s[4:5], 0x0
	s_load_dwordx4 s[8:11], s[4:5], 0x58
	;; [unrolled: 1-line block ×3, first 2 shown]
	v_mul_u32_u24_e32 v1, 0x20d, v0
	v_mov_b32_e32 v3, 0
	v_add_nc_u32_sdwa v5, s6, v1 dst_sel:DWORD dst_unused:UNUSED_PAD src0_sel:DWORD src1_sel:WORD_1
	v_mov_b32_e32 v1, 0
	v_mov_b32_e32 v6, v3
	v_mov_b32_e32 v2, 0
	s_waitcnt lgkmcnt(0)
	v_cmp_lt_u64_e64 s0, s[14:15], 2
	s_and_b32 vcc_lo, exec_lo, s0
	s_cbranch_vccnz .LBB0_8
; %bb.1:
	s_load_dwordx2 s[0:1], s[4:5], 0x10
	v_mov_b32_e32 v1, 0
	v_mov_b32_e32 v2, 0
	s_add_u32 s2, s18, 8
	s_addc_u32 s3, s19, 0
	s_add_u32 s6, s16, 8
	s_addc_u32 s7, s17, 0
	v_mov_b32_e32 v17, v2
	v_mov_b32_e32 v16, v1
	s_mov_b64 s[22:23], 1
	s_waitcnt lgkmcnt(0)
	s_add_u32 s20, s0, 8
	s_addc_u32 s21, s1, 0
.LBB0_2:                                ; =>This Inner Loop Header: Depth=1
	s_load_dwordx2 s[24:25], s[20:21], 0x0
                                        ; implicit-def: $vgpr20_vgpr21
	s_mov_b32 s0, exec_lo
	s_waitcnt lgkmcnt(0)
	v_or_b32_e32 v4, s25, v6
	v_cmpx_ne_u64_e32 0, v[3:4]
	s_xor_b32 s1, exec_lo, s0
	s_cbranch_execz .LBB0_4
; %bb.3:                                ;   in Loop: Header=BB0_2 Depth=1
	v_cvt_f32_u32_e32 v4, s24
	v_cvt_f32_u32_e32 v7, s25
	s_sub_u32 s0, 0, s24
	s_subb_u32 s26, 0, s25
	v_fmac_f32_e32 v4, 0x4f800000, v7
	v_rcp_f32_e32 v4, v4
	v_mul_f32_e32 v4, 0x5f7ffffc, v4
	v_mul_f32_e32 v7, 0x2f800000, v4
	v_trunc_f32_e32 v7, v7
	v_fmac_f32_e32 v4, 0xcf800000, v7
	v_cvt_u32_f32_e32 v7, v7
	v_cvt_u32_f32_e32 v4, v4
	v_mul_lo_u32 v8, s0, v7
	v_mul_hi_u32 v9, s0, v4
	v_mul_lo_u32 v10, s26, v4
	v_add_nc_u32_e32 v8, v9, v8
	v_mul_lo_u32 v9, s0, v4
	v_add_nc_u32_e32 v8, v8, v10
	v_mul_hi_u32 v10, v4, v9
	v_mul_lo_u32 v11, v4, v8
	v_mul_hi_u32 v12, v4, v8
	v_mul_hi_u32 v13, v7, v9
	v_mul_lo_u32 v9, v7, v9
	v_mul_hi_u32 v14, v7, v8
	v_mul_lo_u32 v8, v7, v8
	v_add_co_u32 v10, vcc_lo, v10, v11
	v_add_co_ci_u32_e32 v11, vcc_lo, 0, v12, vcc_lo
	v_add_co_u32 v9, vcc_lo, v10, v9
	v_add_co_ci_u32_e32 v9, vcc_lo, v11, v13, vcc_lo
	v_add_co_ci_u32_e32 v10, vcc_lo, 0, v14, vcc_lo
	v_add_co_u32 v8, vcc_lo, v9, v8
	v_add_co_ci_u32_e32 v9, vcc_lo, 0, v10, vcc_lo
	v_add_co_u32 v4, vcc_lo, v4, v8
	v_add_co_ci_u32_e32 v7, vcc_lo, v7, v9, vcc_lo
	v_mul_hi_u32 v8, s0, v4
	v_mul_lo_u32 v10, s26, v4
	v_mul_lo_u32 v9, s0, v7
	v_add_nc_u32_e32 v8, v8, v9
	v_mul_lo_u32 v9, s0, v4
	v_add_nc_u32_e32 v8, v8, v10
	v_mul_hi_u32 v10, v4, v9
	v_mul_lo_u32 v11, v4, v8
	v_mul_hi_u32 v12, v4, v8
	v_mul_hi_u32 v13, v7, v9
	v_mul_lo_u32 v9, v7, v9
	v_mul_hi_u32 v14, v7, v8
	v_mul_lo_u32 v8, v7, v8
	v_add_co_u32 v10, vcc_lo, v10, v11
	v_add_co_ci_u32_e32 v11, vcc_lo, 0, v12, vcc_lo
	v_add_co_u32 v9, vcc_lo, v10, v9
	v_add_co_ci_u32_e32 v9, vcc_lo, v11, v13, vcc_lo
	v_add_co_ci_u32_e32 v10, vcc_lo, 0, v14, vcc_lo
	v_add_co_u32 v8, vcc_lo, v9, v8
	v_add_co_ci_u32_e32 v9, vcc_lo, 0, v10, vcc_lo
	v_add_co_u32 v4, vcc_lo, v4, v8
	v_add_co_ci_u32_e32 v11, vcc_lo, v7, v9, vcc_lo
	v_mul_hi_u32 v13, v5, v4
	v_mad_u64_u32 v[9:10], null, v6, v4, 0
	v_mad_u64_u32 v[7:8], null, v5, v11, 0
	;; [unrolled: 1-line block ×3, first 2 shown]
	v_add_co_u32 v4, vcc_lo, v13, v7
	v_add_co_ci_u32_e32 v7, vcc_lo, 0, v8, vcc_lo
	v_add_co_u32 v4, vcc_lo, v4, v9
	v_add_co_ci_u32_e32 v4, vcc_lo, v7, v10, vcc_lo
	v_add_co_ci_u32_e32 v7, vcc_lo, 0, v12, vcc_lo
	v_add_co_u32 v4, vcc_lo, v4, v11
	v_add_co_ci_u32_e32 v9, vcc_lo, 0, v7, vcc_lo
	v_mul_lo_u32 v10, s25, v4
	v_mad_u64_u32 v[7:8], null, s24, v4, 0
	v_mul_lo_u32 v11, s24, v9
	v_sub_co_u32 v7, vcc_lo, v5, v7
	v_add3_u32 v8, v8, v11, v10
	v_sub_nc_u32_e32 v10, v6, v8
	v_subrev_co_ci_u32_e64 v10, s0, s25, v10, vcc_lo
	v_add_co_u32 v11, s0, v4, 2
	v_add_co_ci_u32_e64 v12, s0, 0, v9, s0
	v_sub_co_u32 v13, s0, v7, s24
	v_sub_co_ci_u32_e32 v8, vcc_lo, v6, v8, vcc_lo
	v_subrev_co_ci_u32_e64 v10, s0, 0, v10, s0
	v_cmp_le_u32_e32 vcc_lo, s24, v13
	v_cmp_eq_u32_e64 s0, s25, v8
	v_cndmask_b32_e64 v13, 0, -1, vcc_lo
	v_cmp_le_u32_e32 vcc_lo, s25, v10
	v_cndmask_b32_e64 v14, 0, -1, vcc_lo
	v_cmp_le_u32_e32 vcc_lo, s24, v7
	;; [unrolled: 2-line block ×3, first 2 shown]
	v_cndmask_b32_e64 v15, 0, -1, vcc_lo
	v_cmp_eq_u32_e32 vcc_lo, s25, v10
	v_cndmask_b32_e64 v7, v15, v7, s0
	v_cndmask_b32_e32 v10, v14, v13, vcc_lo
	v_add_co_u32 v13, vcc_lo, v4, 1
	v_add_co_ci_u32_e32 v14, vcc_lo, 0, v9, vcc_lo
	v_cmp_ne_u32_e32 vcc_lo, 0, v10
	v_cndmask_b32_e32 v8, v14, v12, vcc_lo
	v_cndmask_b32_e32 v10, v13, v11, vcc_lo
	v_cmp_ne_u32_e32 vcc_lo, 0, v7
	v_cndmask_b32_e32 v21, v9, v8, vcc_lo
	v_cndmask_b32_e32 v20, v4, v10, vcc_lo
.LBB0_4:                                ;   in Loop: Header=BB0_2 Depth=1
	s_andn2_saveexec_b32 s0, s1
	s_cbranch_execz .LBB0_6
; %bb.5:                                ;   in Loop: Header=BB0_2 Depth=1
	v_cvt_f32_u32_e32 v4, s24
	s_sub_i32 s1, 0, s24
	v_mov_b32_e32 v21, v3
	v_rcp_iflag_f32_e32 v4, v4
	v_mul_f32_e32 v4, 0x4f7ffffe, v4
	v_cvt_u32_f32_e32 v4, v4
	v_mul_lo_u32 v7, s1, v4
	v_mul_hi_u32 v7, v4, v7
	v_add_nc_u32_e32 v4, v4, v7
	v_mul_hi_u32 v4, v5, v4
	v_mul_lo_u32 v7, v4, s24
	v_add_nc_u32_e32 v8, 1, v4
	v_sub_nc_u32_e32 v7, v5, v7
	v_subrev_nc_u32_e32 v9, s24, v7
	v_cmp_le_u32_e32 vcc_lo, s24, v7
	v_cndmask_b32_e32 v7, v7, v9, vcc_lo
	v_cndmask_b32_e32 v4, v4, v8, vcc_lo
	v_cmp_le_u32_e32 vcc_lo, s24, v7
	v_add_nc_u32_e32 v8, 1, v4
	v_cndmask_b32_e32 v20, v4, v8, vcc_lo
.LBB0_6:                                ;   in Loop: Header=BB0_2 Depth=1
	s_or_b32 exec_lo, exec_lo, s0
	v_mul_lo_u32 v4, v21, s24
	v_mul_lo_u32 v9, v20, s25
	s_load_dwordx2 s[0:1], s[6:7], 0x0
	v_mad_u64_u32 v[7:8], null, v20, s24, 0
	s_load_dwordx2 s[24:25], s[2:3], 0x0
	s_add_u32 s22, s22, 1
	s_addc_u32 s23, s23, 0
	s_add_u32 s2, s2, 8
	s_addc_u32 s3, s3, 0
	s_add_u32 s6, s6, 8
	v_add3_u32 v4, v8, v9, v4
	v_sub_co_u32 v5, vcc_lo, v5, v7
	s_addc_u32 s7, s7, 0
	s_add_u32 s20, s20, 8
	v_sub_co_ci_u32_e32 v4, vcc_lo, v6, v4, vcc_lo
	s_addc_u32 s21, s21, 0
	s_waitcnt lgkmcnt(0)
	v_mul_lo_u32 v6, s0, v4
	v_mul_lo_u32 v7, s1, v5
	v_mad_u64_u32 v[1:2], null, s0, v5, v[1:2]
	v_mul_lo_u32 v4, s24, v4
	v_mul_lo_u32 v8, s25, v5
	v_mad_u64_u32 v[16:17], null, s24, v5, v[16:17]
	v_cmp_ge_u64_e64 s0, s[22:23], s[14:15]
	v_add3_u32 v2, v7, v2, v6
	v_add3_u32 v17, v8, v17, v4
	s_and_b32 vcc_lo, exec_lo, s0
	s_cbranch_vccnz .LBB0_9
; %bb.7:                                ;   in Loop: Header=BB0_2 Depth=1
	v_mov_b32_e32 v5, v20
	v_mov_b32_e32 v6, v21
	s_branch .LBB0_2
.LBB0_8:
	v_mov_b32_e32 v17, v2
	v_mov_b32_e32 v21, v6
	;; [unrolled: 1-line block ×4, first 2 shown]
.LBB0_9:
	s_load_dwordx2 s[0:1], s[4:5], 0x28
	v_mul_hi_u32 v3, 0x20c49bb, v0
	s_lshl_b64 s[4:5], s[14:15], 3
                                        ; implicit-def: $vgpr18
	s_add_u32 s2, s18, s4
	s_addc_u32 s3, s19, s5
	s_waitcnt lgkmcnt(0)
	v_cmp_gt_u64_e32 vcc_lo, s[0:1], v[20:21]
	v_cmp_le_u64_e64 s0, s[0:1], v[20:21]
	s_and_saveexec_b32 s1, s0
	s_xor_b32 s0, exec_lo, s1
; %bb.10:
	v_mul_u32_u24_e32 v1, 0x7d, v3
                                        ; implicit-def: $vgpr3
	v_sub_nc_u32_e32 v18, v0, v1
                                        ; implicit-def: $vgpr0
                                        ; implicit-def: $vgpr1_vgpr2
; %bb.11:
	s_or_saveexec_b32 s1, s0
	s_load_dwordx2 s[2:3], s[2:3], 0x0
	s_xor_b32 exec_lo, exec_lo, s1
	s_cbranch_execz .LBB0_15
; %bb.12:
	s_add_u32 s4, s16, s4
	s_addc_u32 s5, s17, s5
	v_lshlrev_b64 v[1:2], 2, v[1:2]
	s_load_dwordx2 s[4:5], s[4:5], 0x0
	s_waitcnt lgkmcnt(0)
	v_mul_lo_u32 v6, s5, v20
	v_mul_lo_u32 v7, s4, v21
	v_mad_u64_u32 v[4:5], null, s4, v20, 0
	s_mov_b32 s4, exec_lo
	v_add3_u32 v5, v5, v7, v6
	v_mul_u32_u24_e32 v6, 0x7d, v3
	v_lshlrev_b64 v[3:4], 2, v[4:5]
	v_sub_nc_u32_e32 v18, v0, v6
	v_lshlrev_b32_e32 v10, 2, v18
	v_add_co_u32 v0, s0, s8, v3
	v_add_co_ci_u32_e64 v3, s0, s9, v4, s0
	v_add_co_u32 v0, s0, v0, v1
	v_add_co_ci_u32_e64 v1, s0, v3, v2, s0
	;; [unrolled: 2-line block ×6, first 2 shown]
	s_clause 0xf
	global_load_dword v11, v[2:3], off
	global_load_dword v12, v[2:3], off offset:500
	global_load_dword v13, v[2:3], off offset:1000
	;; [unrolled: 1-line block ×15, first 2 shown]
	v_add_nc_u32_e32 v9, 0, v10
	v_add_nc_u32_e32 v10, 0x200, v9
	v_add_nc_u32_e32 v25, 0x600, v9
	v_add_nc_u32_e32 v26, 0xa00, v9
	v_add_nc_u32_e32 v27, 0xe00, v9
	v_add_nc_u32_e32 v28, 0x1200, v9
	v_add_nc_u32_e32 v29, 0x1600, v9
	v_add_nc_u32_e32 v30, 0x1a00, v9
	s_waitcnt vmcnt(14)
	ds_write2_b32 v9, v11, v12 offset1:125
	s_waitcnt vmcnt(12)
	ds_write2_b32 v10, v13, v14 offset0:122 offset1:247
	s_waitcnt vmcnt(10)
	ds_write2_b32 v25, v2, v3 offset0:116 offset1:241
	;; [unrolled: 2-line block ×7, first 2 shown]
	v_cmpx_eq_u32_e32 0x7c, v18
	s_cbranch_execz .LBB0_14
; %bb.13:
	v_add_co_u32 v0, s0, 0x1800, v0
	v_add_co_ci_u32_e64 v1, s0, 0, v1, s0
	v_mov_b32_e32 v18, 0x7c
	global_load_dword v0, v[0:1], off offset:1856
	v_mov_b32_e32 v1, 0
	s_waitcnt vmcnt(0)
	ds_write_b32 v1, v0 offset:8000
.LBB0_14:
	s_or_b32 exec_lo, exec_lo, s4
.LBB0_15:
	s_or_b32 exec_lo, exec_lo, s1
	v_lshlrev_b32_e32 v0, 2, v18
	s_waitcnt lgkmcnt(0)
	s_barrier
	buffer_gl0_inv
	s_add_u32 s1, s12, 0x1f2c
	v_add_nc_u32_e32 v36, 0, v0
	v_sub_nc_u32_e32 v2, 0, v0
	s_addc_u32 s4, s13, 0
	s_mov_b32 s5, exec_lo
                                        ; implicit-def: $vgpr0_vgpr1
	ds_read_u16 v5, v36
	ds_read_u16 v6, v2 offset:8000
	s_waitcnt lgkmcnt(0)
	v_add_f16_e32 v4, v6, v5
	v_sub_f16_e32 v3, v5, v6
	v_cmpx_ne_u32_e32 0, v18
	s_xor_b32 s5, exec_lo, s5
	s_cbranch_execz .LBB0_17
; %bb.16:
	v_mov_b32_e32 v19, 0
	v_add_f16_e32 v4, v6, v5
	v_sub_f16_e32 v5, v5, v6
	v_lshlrev_b64 v[0:1], 2, v[18:19]
	v_add_co_u32 v0, s0, s1, v0
	v_add_co_ci_u32_e64 v1, s0, s4, v1, s0
	global_load_dword v0, v[0:1], off
	ds_read_u16 v1, v2 offset:8002
	ds_read_u16 v3, v36 offset:2
	s_waitcnt lgkmcnt(0)
	v_add_f16_e32 v6, v1, v3
	v_sub_f16_e32 v1, v3, v1
	s_waitcnt vmcnt(0)
	v_lshrrev_b32_e32 v7, 16, v0
	v_fma_f16 v8, -v5, v7, v4
	v_fma_f16 v9, v6, v7, -v1
	v_fma_f16 v3, v6, v7, v1
	v_fma_f16 v4, v5, v7, v4
	v_fmac_f16_e32 v8, v0, v6
	v_fmac_f16_e32 v9, v5, v0
	;; [unrolled: 1-line block ×3, first 2 shown]
	v_fma_f16 v4, -v0, v6, v4
	v_mov_b32_e32 v0, v18
	v_mov_b32_e32 v1, v19
	v_pack_b32_f16 v5, v8, v9
	ds_write_b32 v2, v5 offset:8000
.LBB0_17:
	s_andn2_saveexec_b32 s0, s5
	s_cbranch_execz .LBB0_19
; %bb.18:
	v_mov_b32_e32 v5, 0
	ds_read_b32 v0, v5 offset:4000
	s_waitcnt lgkmcnt(0)
	v_pk_mul_f16 v6, 0xc0004000, v0
	v_mov_b32_e32 v0, 0
	v_mov_b32_e32 v1, 0
	ds_write_b32 v5, v6 offset:4000
.LBB0_19:
	s_or_b32 exec_lo, exec_lo, s0
	v_lshlrev_b64 v[0:1], 2, v[0:1]
	v_add_nc_u32_e32 v19, 0x600, v36
	v_add_nc_u32_e32 v26, 0x1200, v36
	v_add_co_u32 v0, s0, s1, v0
	v_add_co_ci_u32_e64 v1, s0, s4, v1, s0
	s_clause 0x3
	global_load_dword v5, v[0:1], off offset:500
	global_load_dword v6, v[0:1], off offset:1000
	;; [unrolled: 1-line block ×4, first 2 shown]
	v_add_co_u32 v0, s0, 0x800, v0
	v_add_co_ci_u32_e64 v1, s0, 0, v1, s0
	v_cmp_gt_u32_e64 s0, 25, v18
	s_clause 0x2
	global_load_dword v9, v[0:1], off offset:452
	global_load_dword v10, v[0:1], off offset:952
	;; [unrolled: 1-line block ×3, first 2 shown]
	v_perm_b32 v1, v3, v4, 0x5040100
	ds_write_b32 v36, v1
	ds_read_b32 v1, v36 offset:500
	ds_read_b32 v3, v2 offset:7500
	s_waitcnt lgkmcnt(0)
	v_add_f16_e32 v4, v1, v3
	v_add_f16_sdwa v11, v3, v1 dst_sel:DWORD dst_unused:UNUSED_PAD src0_sel:WORD_1 src1_sel:WORD_1
	v_sub_f16_e32 v12, v1, v3
	v_sub_f16_sdwa v1, v1, v3 dst_sel:DWORD dst_unused:UNUSED_PAD src0_sel:WORD_1 src1_sel:WORD_1
	s_waitcnt vmcnt(6)
	v_lshrrev_b32_e32 v13, 16, v5
	v_fma_f16 v3, v12, v13, v4
	v_fma_f16 v14, v11, v13, v1
	v_fma_f16 v4, -v12, v13, v4
	v_fma_f16 v1, v11, v13, -v1
	v_fma_f16 v3, -v5, v11, v3
	v_fmac_f16_e32 v14, v12, v5
	v_fmac_f16_e32 v4, v5, v11
	;; [unrolled: 1-line block ×3, first 2 shown]
	v_pack_b32_f16 v3, v3, v14
	v_lshlrev_b32_e32 v14, 4, v18
	v_pack_b32_f16 v1, v4, v1
	s_waitcnt vmcnt(5)
	v_lshrrev_b32_e32 v4, 16, v6
	ds_write_b32 v36, v3 offset:500
	ds_write_b32 v2, v1 offset:7500
	ds_read_b32 v1, v36 offset:1000
	ds_read_b32 v3, v2 offset:7000
	s_waitcnt lgkmcnt(0)
	v_add_f16_e32 v5, v1, v3
	v_add_f16_sdwa v11, v3, v1 dst_sel:DWORD dst_unused:UNUSED_PAD src0_sel:WORD_1 src1_sel:WORD_1
	v_sub_f16_e32 v12, v1, v3
	v_sub_f16_sdwa v1, v1, v3 dst_sel:DWORD dst_unused:UNUSED_PAD src0_sel:WORD_1 src1_sel:WORD_1
	v_fma_f16 v3, v12, v4, v5
	v_fma_f16 v13, v11, v4, v1
	v_fma_f16 v5, -v12, v4, v5
	v_fma_f16 v1, v11, v4, -v1
	s_waitcnt vmcnt(4)
	v_lshrrev_b32_e32 v4, 16, v7
	v_fma_f16 v3, -v6, v11, v3
	v_fmac_f16_e32 v13, v12, v6
	v_fmac_f16_e32 v5, v6, v11
	;; [unrolled: 1-line block ×3, first 2 shown]
	v_pack_b32_f16 v3, v3, v13
	v_pack_b32_f16 v1, v5, v1
	ds_write_b32 v36, v3 offset:1000
	ds_write_b32 v2, v1 offset:7000
	ds_read_b32 v1, v36 offset:1500
	ds_read_b32 v3, v2 offset:6500
	s_waitcnt lgkmcnt(0)
	v_add_f16_e32 v5, v1, v3
	v_add_f16_sdwa v6, v3, v1 dst_sel:DWORD dst_unused:UNUSED_PAD src0_sel:WORD_1 src1_sel:WORD_1
	v_sub_f16_e32 v11, v1, v3
	v_sub_f16_sdwa v1, v1, v3 dst_sel:DWORD dst_unused:UNUSED_PAD src0_sel:WORD_1 src1_sel:WORD_1
	v_fma_f16 v3, v11, v4, v5
	v_fma_f16 v12, v6, v4, v1
	v_fma_f16 v5, -v11, v4, v5
	v_fma_f16 v1, v6, v4, -v1
	s_waitcnt vmcnt(3)
	v_lshrrev_b32_e32 v4, 16, v8
	v_fma_f16 v3, -v7, v6, v3
	v_fmac_f16_e32 v12, v11, v7
	v_fmac_f16_e32 v5, v7, v6
	;; [unrolled: 1-line block ×3, first 2 shown]
	v_pack_b32_f16 v3, v3, v12
	v_add_nc_u32_e32 v12, 0x1600, v36
	v_pack_b32_f16 v1, v5, v1
	ds_write_b32 v36, v3 offset:1500
	ds_write_b32 v2, v1 offset:6500
	ds_read_b32 v1, v36 offset:2000
	ds_read_b32 v3, v2 offset:6000
	s_waitcnt lgkmcnt(0)
	v_add_f16_e32 v5, v1, v3
	v_add_f16_sdwa v6, v3, v1 dst_sel:DWORD dst_unused:UNUSED_PAD src0_sel:WORD_1 src1_sel:WORD_1
	v_sub_f16_e32 v7, v1, v3
	v_sub_f16_sdwa v1, v1, v3 dst_sel:DWORD dst_unused:UNUSED_PAD src0_sel:WORD_1 src1_sel:WORD_1
	v_fma_f16 v3, v7, v4, v5
	v_fma_f16 v11, v6, v4, v1
	v_fma_f16 v5, -v7, v4, v5
	v_fma_f16 v1, v6, v4, -v1
	s_waitcnt vmcnt(2)
	v_lshrrev_b32_e32 v4, 16, v9
	v_fma_f16 v3, -v8, v6, v3
	v_fmac_f16_e32 v11, v7, v8
	v_fmac_f16_e32 v5, v8, v6
	;; [unrolled: 1-line block ×3, first 2 shown]
	v_pack_b32_f16 v3, v3, v11
	v_pack_b32_f16 v1, v5, v1
	ds_write_b32 v36, v3 offset:2000
	ds_write_b32 v2, v1 offset:6000
	ds_read_b32 v1, v36 offset:2500
	ds_read_b32 v3, v2 offset:5500
	s_waitcnt lgkmcnt(0)
	v_add_f16_e32 v5, v1, v3
	v_add_f16_sdwa v6, v3, v1 dst_sel:DWORD dst_unused:UNUSED_PAD src0_sel:WORD_1 src1_sel:WORD_1
	v_sub_f16_e32 v7, v1, v3
	v_sub_f16_sdwa v1, v1, v3 dst_sel:DWORD dst_unused:UNUSED_PAD src0_sel:WORD_1 src1_sel:WORD_1
	v_fma_f16 v3, v7, v4, v5
	v_fma_f16 v8, v6, v4, v1
	v_fma_f16 v5, -v7, v4, v5
	v_fma_f16 v1, v6, v4, -v1
	s_waitcnt vmcnt(1)
	v_lshrrev_b32_e32 v4, 16, v10
	v_fma_f16 v3, -v9, v6, v3
	v_fmac_f16_e32 v8, v7, v9
	v_fmac_f16_e32 v5, v9, v6
	;; [unrolled: 1-line block ×3, first 2 shown]
	v_pack_b32_f16 v3, v3, v8
	v_pack_b32_f16 v1, v5, v1
	ds_write_b32 v36, v3 offset:2500
	ds_write_b32 v2, v1 offset:5500
	ds_read_b32 v1, v36 offset:3000
	ds_read_b32 v3, v2 offset:5000
	s_waitcnt lgkmcnt(0)
	v_add_f16_e32 v5, v1, v3
	v_add_f16_sdwa v6, v3, v1 dst_sel:DWORD dst_unused:UNUSED_PAD src0_sel:WORD_1 src1_sel:WORD_1
	v_sub_f16_e32 v7, v1, v3
	v_sub_f16_sdwa v1, v1, v3 dst_sel:DWORD dst_unused:UNUSED_PAD src0_sel:WORD_1 src1_sel:WORD_1
	v_fma_f16 v3, v7, v4, v5
	v_fma_f16 v8, v6, v4, v1
	v_fma_f16 v5, -v7, v4, v5
	v_fma_f16 v1, v6, v4, -v1
	s_waitcnt vmcnt(0)
	v_lshrrev_b32_e32 v4, 16, v0
	v_fma_f16 v3, -v10, v6, v3
	v_fmac_f16_e32 v8, v7, v10
	v_fmac_f16_e32 v5, v10, v6
	;; [unrolled: 1-line block ×3, first 2 shown]
	v_add_nc_u32_e32 v10, 0x1c00, v36
	v_pack_b32_f16 v3, v3, v8
	v_pack_b32_f16 v1, v5, v1
	ds_write_b32 v36, v3 offset:3000
	ds_write_b32 v2, v1 offset:5000
	ds_read_b32 v1, v36 offset:3500
	ds_read_b32 v3, v2 offset:4500
	s_waitcnt lgkmcnt(0)
	v_add_f16_e32 v5, v1, v3
	v_add_f16_sdwa v6, v3, v1 dst_sel:DWORD dst_unused:UNUSED_PAD src0_sel:WORD_1 src1_sel:WORD_1
	v_sub_f16_e32 v7, v1, v3
	v_sub_f16_sdwa v1, v1, v3 dst_sel:DWORD dst_unused:UNUSED_PAD src0_sel:WORD_1 src1_sel:WORD_1
	v_fma_f16 v3, v7, v4, v5
	v_fma_f16 v8, v6, v4, v1
	v_fma_f16 v5, -v7, v4, v5
	v_fma_f16 v1, v6, v4, -v1
	v_add_nc_u32_e32 v4, 0x200, v36
	v_fma_f16 v3, -v0, v6, v3
	v_fmac_f16_e32 v8, v7, v0
	v_fmac_f16_e32 v5, v0, v6
	;; [unrolled: 1-line block ×3, first 2 shown]
	v_add_nc_u32_e32 v6, 0xa00, v36
	v_add_nc_u32_e32 v0, 0x1000, v36
	v_pack_b32_f16 v3, v3, v8
	v_pack_b32_f16 v1, v5, v1
	ds_write_b32 v36, v3 offset:3500
	ds_write_b32 v2, v1 offset:4500
	v_add_nc_u32_e32 v1, 0xc00, v36
	v_add_nc_u32_e32 v2, 0x1800, v36
	s_waitcnt lgkmcnt(0)
	s_barrier
	buffer_gl0_inv
	s_barrier
	buffer_gl0_inv
	ds_read2_b32 v[4:5], v4 offset0:122 offset1:247
	ds_read2_b32 v[6:7], v6 offset0:10 offset1:135
	;; [unrolled: 1-line block ×5, first 2 shown]
	v_add_nc_u32_e32 v3, v36, v14
	ds_read2_b32 v[14:15], v36 offset1:125
	ds_read2_b32 v[22:23], v19 offset0:16 offset1:141
	ds_read2_b32 v[24:25], v1 offset0:32 offset1:157
	;; [unrolled: 1-line block ×4, first 2 shown]
	s_waitcnt lgkmcnt(0)
	s_barrier
	buffer_gl0_inv
	v_add_nc_u32_e32 v19, 0x9c4, v3
	v_add_nc_u32_e32 v30, 0x9cc, v3
	v_add_nc_u32_e32 v31, 0x1388, v3
	v_add_nc_u32_e32 v32, 0x1390, v3
	v_pk_add_f16 v33, v5, v7
	v_pk_add_f16 v38, v9, v7 neg_lo:[0,1] neg_hi:[0,1]
	v_pk_add_f16 v34, v7, v11 neg_lo:[0,1] neg_hi:[0,1]
	;; [unrolled: 1-line block ×3, first 2 shown]
	v_pk_add_f16 v37, v7, v11
	v_pk_add_f16 v39, v13, v11 neg_lo:[0,1] neg_hi:[0,1]
	v_pk_add_f16 v40, v9, v13
	v_pk_add_f16 v42, v14, v22
	;; [unrolled: 1-line block ×3, first 2 shown]
	v_pk_add_f16 v44, v22, v28 neg_lo:[0,1] neg_hi:[0,1]
	v_pk_add_f16 v7, v7, v9 neg_lo:[0,1] neg_hi:[0,1]
	;; [unrolled: 1-line block ×6, first 2 shown]
	v_pk_add_f16 v48, v22, v28
	v_pk_add_f16 v50, v15, v23
	;; [unrolled: 1-line block ×3, first 2 shown]
	v_pk_add_f16 v52, v23, v29 neg_lo:[0,1] neg_hi:[0,1]
	v_pk_add_f16 v22, v24, v22 neg_lo:[0,1] neg_hi:[0,1]
	;; [unrolled: 1-line block ×4, first 2 shown]
	v_pk_add_f16 v56, v23, v29
	v_pk_add_f16 v58, v4, v6
	;; [unrolled: 1-line block ×3, first 2 shown]
	v_pk_add_f16 v60, v6, v10 neg_lo:[0,1] neg_hi:[0,1]
	v_pk_add_f16 v61, v8, v12 neg_lo:[0,1] neg_hi:[0,1]
	v_pk_add_f16 v63, v6, v10
	v_pk_add_f16 v24, v42, v24
	v_pk_fma_f16 v42, v43, 0.5, v14 op_sel_hi:[1,0,1] neg_lo:[1,0,0] neg_hi:[1,0,0]
	v_pk_add_f16 v9, v33, v9
	v_pk_fma_f16 v33, v37, 0.5, v5 op_sel_hi:[1,0,1] neg_lo:[1,0,0] neg_hi:[1,0,0]
	v_pk_mul_f16 v37, 0x3b9c, v35 op_sel_hi:[0,1]
	v_pk_add_f16 v38, v38, v39
	v_pk_mul_f16 v39, 0x38b4, v34 op_sel_hi:[0,1]
	v_pk_fma_f16 v5, v40, 0.5, v5 op_sel_hi:[1,0,1] neg_lo:[1,0,0] neg_hi:[1,0,0]
	v_pk_mul_f16 v34, 0x3b9c, v34 op_sel_hi:[0,1]
	v_pk_mul_f16 v40, 0x3b9c, v44 op_sel_hi:[0,1]
	v_pk_fma_f16 v14, v48, 0.5, v14 op_sel_hi:[1,0,1] neg_lo:[1,0,0] neg_hi:[1,0,0]
	v_pk_add_f16 v7, v7, v41
	v_pk_add_f16 v41, v46, v47
	v_pk_mul_f16 v46, 0x38b4, v45 op_sel_hi:[0,1]
	v_pk_mul_f16 v45, 0x3b9c, v45 op_sel_hi:[0,1]
	v_pk_add_f16 v54, v23, v25 neg_lo:[0,1] neg_hi:[0,1]
	v_pk_add_f16 v23, v25, v23 neg_lo:[0,1] neg_hi:[0,1]
	v_pk_add_f16 v25, v50, v25
	v_pk_fma_f16 v43, v51, 0.5, v15 op_sel_hi:[1,0,1] neg_lo:[1,0,0] neg_hi:[1,0,0]
	v_pk_mul_f16 v47, 0x3b9c, v52 op_sel_hi:[0,1]
	v_pk_fma_f16 v15, v56, 0.5, v15 op_sel_hi:[1,0,1] neg_lo:[1,0,0] neg_hi:[1,0,0]
	v_pk_add_f16 v22, v22, v49
	v_pk_mul_f16 v49, 0x3b9c, v53 op_sel_hi:[0,1]
	v_pk_add_f16 v55, v29, v27 neg_lo:[0,1] neg_hi:[0,1]
	v_pk_add_f16 v57, v27, v29 neg_lo:[0,1] neg_hi:[0,1]
	;; [unrolled: 1-line block ×4, first 2 shown]
	v_pk_mul_f16 v35, 0x38b4, v35 op_sel_hi:[0,1]
	v_pk_mul_f16 v48, 0x38b4, v53 op_sel_hi:[0,1]
	;; [unrolled: 1-line block ×3, first 2 shown]
	v_pk_add_f16 v8, v58, v8
	v_pk_fma_f16 v52, v59, 0.5, v4 op_sel_hi:[1,0,1] neg_lo:[1,0,0] neg_hi:[1,0,0]
	v_pk_mul_f16 v53, 0x3b9c, v60 op_sel_hi:[0,1]
	v_pk_fma_f16 v4, v63, 0.5, v4 op_sel_hi:[1,0,1] neg_lo:[1,0,0] neg_hi:[1,0,0]
	v_pk_mul_f16 v56, 0x3b9c, v61 op_sel_hi:[0,1]
	v_pk_add_f16 v9, v9, v13
	v_pk_add_f16 v13, v33, v37 op_sel:[0,1] op_sel_hi:[1,0] neg_lo:[0,1] neg_hi:[0,1]
	v_pk_add_f16 v33, v37, v33 op_sel:[1,0] op_sel_hi:[0,1]
	v_pk_add_f16 v37, v5, v34 op_sel:[0,1] op_sel_hi:[1,0] neg_lo:[0,1] neg_hi:[0,1]
	v_pk_add_f16 v5, v5, v34 op_sel:[0,1] op_sel_hi:[1,0]
	v_pk_add_f16 v24, v24, v26
	v_pk_add_f16 v26, v42, v40 op_sel:[0,1] op_sel_hi:[1,0]
	v_pk_add_f16 v34, v42, v40 op_sel:[0,1] op_sel_hi:[1,0] neg_lo:[0,1] neg_hi:[0,1]
	v_pk_mul_f16 v44, 0x38b4, v44 op_sel_hi:[0,1]
	v_pk_add_f16 v40, v14, v45 op_sel:[0,1] op_sel_hi:[1,0] neg_lo:[0,1] neg_hi:[0,1]
	v_pk_add_f16 v14, v14, v45 op_sel:[0,1] op_sel_hi:[1,0]
	v_pk_add_f16 v25, v25, v27
	v_pk_add_f16 v27, v43, v47 op_sel:[0,1] op_sel_hi:[1,0]
	v_pk_add_f16 v43, v43, v47 op_sel:[0,1] op_sel_hi:[1,0] neg_lo:[0,1] neg_hi:[0,1]
	v_pk_add_f16 v45, v15, v49 op_sel:[0,1] op_sel_hi:[1,0] neg_lo:[0,1] neg_hi:[0,1]
	v_pk_add_f16 v15, v15, v49 op_sel:[0,1] op_sel_hi:[1,0]
	v_pk_add_f16 v64, v10, v12 neg_lo:[0,1] neg_hi:[0,1]
	v_pk_add_f16 v65, v12, v10 neg_lo:[0,1] neg_hi:[0,1]
	v_pk_add_f16 v50, v54, v55
	v_pk_add_f16 v23, v23, v57
	v_pk_mul_f16 v54, 0x38b4, v61 op_sel_hi:[0,1]
	v_pk_mul_f16 v57, 0x38b4, v60 op_sel_hi:[0,1]
	v_pk_add_f16 v8, v8, v12
	v_pk_add_f16 v12, v52, v53 op_sel:[0,1] op_sel_hi:[1,0]
	v_pk_add_f16 v47, v52, v53 op_sel:[0,1] op_sel_hi:[1,0] neg_lo:[0,1] neg_hi:[0,1]
	v_pk_add_f16 v49, v4, v56 op_sel:[0,1] op_sel_hi:[1,0] neg_lo:[0,1] neg_hi:[0,1]
	v_pk_add_f16 v4, v4, v56 op_sel:[0,1] op_sel_hi:[1,0]
	v_pk_add_f16 v42, v9, v11
	v_pk_add_f16 v9, v39, v13 op_sel:[1,0] op_sel_hi:[0,1]
	v_pk_add_f16 v11, v33, v39 op_sel:[0,1] op_sel_hi:[1,0] neg_lo:[0,1] neg_hi:[0,1]
	v_pk_add_f16 v5, v5, v35 op_sel:[0,1] op_sel_hi:[1,0]
	v_pk_add_f16 v13, v37, v35 op_sel:[0,1] op_sel_hi:[1,0] neg_lo:[0,1] neg_hi:[0,1]
	v_pk_add_f16 v24, v24, v28
	v_pk_add_f16 v26, v26, v46 op_sel:[0,1] op_sel_hi:[1,0]
	v_pk_add_f16 v28, v34, v46 op_sel:[0,1] op_sel_hi:[1,0] neg_lo:[0,1] neg_hi:[0,1]
	v_pk_add_f16 v33, v40, v44 op_sel:[0,1] op_sel_hi:[1,0]
	v_pk_add_f16 v14, v14, v44 op_sel:[0,1] op_sel_hi:[1,0] neg_lo:[0,1] neg_hi:[0,1]
	;; [unrolled: 5-line block ×4, first 2 shown]
	v_pk_fma_f16 v45, 0x34f2, v38, v9 op_sel_hi:[0,1,1]
	v_bfi_b32 v9, 0xffff, v5, v13
	v_bfi_b32 v5, 0xffff, v13, v5
	v_pk_fma_f16 v46, 0x34f2, v38, v11 op_sel_hi:[0,1,1]
	v_bfi_b32 v11, 0xffff, v26, v28
	v_bfi_b32 v13, 0xffff, v33, v14
	;; [unrolled: 1-line block ×7, first 2 shown]
	v_pk_add_f16 v55, v62, v64
	v_pk_add_f16 v6, v6, v65
	v_bfi_b32 v27, 0xffff, v29, v27
	v_bfi_b32 v29, 0xffff, v10, v12
	;; [unrolled: 1-line block ×5, first 2 shown]
	v_pk_fma_f16 v49, 0x34f2, v7, v9 op_sel_hi:[0,1,1]
	v_pk_fma_f16 v47, 0x34f2, v7, v5 op_sel_hi:[0,1,1]
	v_lshrrev_b32_e32 v48, 16, v45
	v_pk_fma_f16 v5, 0x34f2, v41, v11 op_sel_hi:[0,1,1]
	v_pk_fma_f16 v7, 0x34f2, v22, v13 op_sel_hi:[0,1,1]
	;; [unrolled: 1-line block ×12, first 2 shown]
	ds_write2_b32 v3, v24, v5 offset1:1
	ds_write2_b32 v3, v7, v9 offset0:2 offset1:3
	ds_write_b32 v3, v11 offset:16
	ds_write2_b32 v19, v25, v12 offset1:1
	ds_write2_b32 v30, v13, v14 offset1:1
	ds_write_b32 v3, v15 offset:2516
	ds_write2_b32 v31, v8, v22 offset1:1
	ds_write2_b32 v32, v23, v4 offset1:1
	ds_write_b32 v3, v6 offset:5016
	s_and_saveexec_b32 s1, s0
	s_cbranch_execz .LBB0_21
; %bb.20:
	v_add_nc_u32_e32 v4, 0x1d4c, v3
	v_add_nc_u32_e32 v5, 0x1d54, v3
	v_bfi_b32 v6, 0xffff, v45, v46
	v_perm_b32 v7, v48, v46, 0x5040100
	ds_write2_b32 v4, v42, v49 offset1:1
	ds_write2_b32 v5, v6, v7 offset1:1
	ds_write_b32 v3, v47 offset:7516
.LBB0_21:
	s_or_b32 exec_lo, exec_lo, s1
	v_add_nc_u32_e32 v3, 0x300, v36
	s_waitcnt lgkmcnt(0)
	s_barrier
	buffer_gl0_inv
	ds_read2_b32 v[22:23], v36 offset1:125
	ds_read2_b32 v[24:25], v3 offset0:58 offset1:208
	v_add_nc_u32_e32 v3, 0x800, v36
	v_add_nc_u32_e32 v4, 0x1400, v36
	ds_read2_b32 v[28:29], v1 offset0:32 offset1:157
	ds_read2_b32 v[34:35], v0 offset0:26 offset1:176
	ds_read2_b32 v[26:27], v2 offset0:64 offset1:189
	ds_read2_b32 v[32:33], v3 offset0:13 offset1:138
	ds_read2_b32 v[30:31], v4 offset0:45 offset1:170
	ds_read_b32 v50, v36 offset:7400
	v_lshrrev_b32_e32 v51, 16, v47
	s_and_saveexec_b32 s1, s0
	s_cbranch_execz .LBB0_23
; %bb.22:
	ds_read_b32 v0, v36 offset:6300
	ds_read_b32 v47, v36 offset:7900
	;; [unrolled: 1-line block ×5, first 2 shown]
	s_waitcnt lgkmcnt(4)
	v_lshrrev_b32_e32 v48, 16, v0
	s_waitcnt lgkmcnt(3)
	v_lshrrev_b32_e32 v51, 16, v47
	s_waitcnt lgkmcnt(2)
	v_bfi_b32 v46, 0xffff, v0, v45
.LBB0_23:
	s_or_b32 exec_lo, exec_lo, s1
	v_add_nc_u32_e32 v19, 0x177, v18
	v_mov_b32_e32 v0, 0xcccd
	v_and_b32_e32 v39, 0xff, v18
	v_add_nc_u32_e32 v38, 0xfa, v18
	v_add_nc_u16 v40, v18, 0x7d
	v_mov_b32_e32 v70, 0x64
	v_mul_u32_u24_sdwa v1, v19, v0 dst_sel:DWORD dst_unused:UNUSED_PAD src0_sel:WORD_0 src1_sel:DWORD
	v_mov_b32_e32 v62, 2
	v_mul_u32_u24_sdwa v0, v38, v0 dst_sel:DWORD dst_unused:UNUSED_PAD src0_sel:WORD_0 src1_sel:DWORD
	v_and_b32_e32 v41, 0xff, v40
	s_waitcnt lgkmcnt(0)
	v_lshrrev_b32_e32 v52, 16, v49
	v_lshrrev_b32_e32 v43, 18, v1
	v_mul_lo_u16 v1, 0xcd, v39
	v_lshrrev_b32_e32 v65, 18, v0
	v_lshrrev_b32_e32 v55, 16, v46
	;; [unrolled: 1-line block ×3, first 2 shown]
	v_mul_lo_u16 v2, v43, 5
	v_lshrrev_b16 v37, 10, v1
	v_mul_lo_u16 v0, v65, 5
	v_mov_b32_e32 v1, 4
	v_mul_u32_u24_e32 v65, 0x64, v65
	v_sub_nc_u16 v44, v19, v2
	v_mul_lo_u16 v2, v37, 5
	v_sub_nc_u16 v67, v38, v0
	v_lshrrev_b32_e32 v54, 16, v28
	v_lshrrev_b32_e32 v56, 16, v35
	v_lshlrev_b32_sdwa v3, v1, v44 dst_sel:DWORD dst_unused:UNUSED_PAD src0_sel:DWORD src1_sel:WORD_0
	v_sub_nc_u16 v66, v18, v2
	v_lshlrev_b32_sdwa v0, v1, v67 dst_sel:DWORD dst_unused:UNUSED_PAD src0_sel:DWORD src1_sel:WORD_0
	v_lshlrev_b32_sdwa v67, v62, v67 dst_sel:DWORD dst_unused:UNUSED_PAD src0_sel:DWORD src1_sel:WORD_0
	v_lshrrev_b32_e32 v57, 16, v26
	global_load_dwordx4 v[8:11], v3, s[12:13]
	v_lshlrev_b32_sdwa v2, v1, v66 dst_sel:DWORD dst_unused:UNUSED_PAD src0_sel:DWORD src1_sel:BYTE_0
	v_lshrrev_b32_e32 v58, 16, v34
	v_lshrrev_b32_e32 v59, 16, v50
	global_load_dwordx4 v[4:7], v0, s[12:13]
	v_mul_lo_u16 v0, 0xcd, v41
	global_load_dwordx4 v[12:15], v2, s[12:13]
	v_lshrrev_b32_e32 v60, 16, v33
	v_lshrrev_b32_e32 v61, 16, v31
	v_mul_u32_u24_sdwa v75, v37, v70 dst_sel:DWORD dst_unused:UNUSED_PAD src0_sel:WORD_0 src1_sel:DWORD
	v_lshrrev_b16 v68, 10, v0
	v_lshlrev_b32_sdwa v66, v62, v66 dst_sel:DWORD dst_unused:UNUSED_PAD src0_sel:DWORD src1_sel:BYTE_0
	v_add3_u32 v65, 0, v65, v67
	v_lshrrev_b32_e32 v71, 16, v32
	v_lshrrev_b32_e32 v72, 16, v29
	v_mul_lo_u16 v0, v68, 5
	v_mul_u32_u24_sdwa v68, v68, v70 dst_sel:DWORD dst_unused:UNUSED_PAD src0_sel:WORD_0 src1_sel:DWORD
	v_lshrrev_b32_e32 v73, 16, v30
	v_lshrrev_b32_e32 v74, 16, v27
	v_add3_u32 v66, 0, v75, v66
	v_sub_nc_u16 v69, v40, v0
	v_lshrrev_b32_e32 v63, 16, v22
	v_lshrrev_b32_e32 v64, 16, v24
	;; [unrolled: 1-line block ×4, first 2 shown]
	v_lshlrev_b32_sdwa v0, v1, v69 dst_sel:DWORD dst_unused:UNUSED_PAD src0_sel:DWORD src1_sel:BYTE_0
	v_lshlrev_b32_sdwa v69, v62, v69 dst_sel:DWORD dst_unused:UNUSED_PAD src0_sel:DWORD src1_sel:BYTE_0
	global_load_dwordx4 v[0:3], v0, s[12:13]
	v_add3_u32 v67, 0, v68, v69
	s_waitcnt vmcnt(0)
	s_barrier
	buffer_gl0_inv
	v_mul_f16_sdwa v68, v52, v8 dst_sel:DWORD dst_unused:UNUSED_PAD src0_sel:DWORD src1_sel:WORD_1
	v_mul_f16_sdwa v69, v49, v8 dst_sel:DWORD dst_unused:UNUSED_PAD src0_sel:DWORD src1_sel:WORD_1
	;; [unrolled: 1-line block ×8, first 2 shown]
	v_mul_f16_sdwa v81, v12, v25 dst_sel:DWORD dst_unused:UNUSED_PAD src0_sel:WORD_1 src1_sel:DWORD
	v_mul_f16_sdwa v82, v12, v53 dst_sel:DWORD dst_unused:UNUSED_PAD src0_sel:WORD_1 src1_sel:DWORD
	;; [unrolled: 1-line block ×8, first 2 shown]
	v_mul_f16_sdwa v89, v58, v5 dst_sel:DWORD dst_unused:UNUSED_PAD src0_sel:DWORD src1_sel:WORD_1
	v_mul_f16_sdwa v90, v34, v5 dst_sel:DWORD dst_unused:UNUSED_PAD src0_sel:DWORD src1_sel:WORD_1
	;; [unrolled: 1-line block ×7, first 2 shown]
	v_fma_f16 v49, v49, v8, -v68
	v_mul_f16_sdwa v68, v61, v6 dst_sel:DWORD dst_unused:UNUSED_PAD src0_sel:DWORD src1_sel:WORD_1
	v_fmac_f16_e32 v69, v52, v8
	v_fma_f16 v8, v45, v9, -v75
	v_fmac_f16_e32 v76, v55, v9
	v_fma_f16 v9, v46, v10, -v77
	;; [unrolled: 2-line block ×3, first 2 shown]
	v_fmac_f16_e32 v80, v51, v11
	v_fmac_f16_e32 v81, v12, v53
	;; [unrolled: 1-line block ×5, first 2 shown]
	v_fma_f16 v11, v12, v25, -v82
	v_fma_f16 v12, v13, v28, -v84
	;; [unrolled: 1-line block ×5, first 2 shown]
	v_fmac_f16_e32 v90, v58, v5
	v_fma_f16 v5, v50, v7, -v91
	v_fmac_f16_e32 v92, v59, v7
	v_fmac_f16_e32 v93, v60, v4
	;; [unrolled: 1-line block ×3, first 2 shown]
	v_fma_f16 v4, v33, v4, -v95
	v_fma_f16 v6, v31, v6, -v68
	v_mul_f16_sdwa v7, v0, v71 dst_sel:DWORD dst_unused:UNUSED_PAD src0_sel:WORD_1 src1_sel:DWORD
	v_mul_f16_sdwa v14, v1, v72 dst_sel:DWORD dst_unused:UNUSED_PAD src0_sel:WORD_1 src1_sel:DWORD
	;; [unrolled: 1-line block ×6, first 2 shown]
	v_mul_f16_sdwa v34, v74, v3 dst_sel:DWORD dst_unused:UNUSED_PAD src0_sel:DWORD src1_sel:WORD_1
	v_mul_f16_sdwa v35, v27, v3 dst_sel:DWORD dst_unused:UNUSED_PAD src0_sel:DWORD src1_sel:WORD_1
	v_fma_f16 v7, v0, v32, -v7
	v_fma_f16 v29, v1, v29, -v14
	;; [unrolled: 1-line block ×3, first 2 shown]
	v_fmac_f16_e32 v28, v0, v71
	v_fmac_f16_e32 v31, v1, v72
	;; [unrolled: 1-line block ×3, first 2 shown]
	v_fma_f16 v0, v27, v3, -v34
	v_sub_f16_e32 v1, v11, v12
	v_sub_f16_e32 v2, v26, v13
	v_add_f16_e32 v27, v83, v85
	v_sub_f16_e32 v30, v81, v83
	v_sub_f16_e32 v34, v86, v85
	;; [unrolled: 1-line block ×6, first 2 shown]
	v_add_f16_e32 v89, v22, v11
	v_add_f16_e32 v51, v15, v6
	v_sub_f16_e32 v54, v15, v4
	v_sub_f16_e32 v55, v6, v5
	;; [unrolled: 1-line block ×4, first 2 shown]
	v_fmac_f16_e32 v35, v74, v3
	v_sub_f16_e32 v3, v12, v11
	v_sub_f16_e32 v14, v13, v26
	v_add_f16_e32 v25, v63, v81
	v_add_f16_e32 v45, v81, v86
	;; [unrolled: 1-line block ×7, first 2 shown]
	v_sub_f16_e32 v61, v90, v93
	v_sub_f16_e32 v68, v94, v92
	;; [unrolled: 1-line block ×6, first 2 shown]
	v_add_f16_e32 v79, v76, v78
	v_add_f16_e32 v84, v37, v69
	;; [unrolled: 1-line block ×4, first 2 shown]
	v_sub_f16_e32 v2, v12, v13
	v_add_f16_e32 v34, v30, v34
	v_fma_f16 v97, -0.5, v27, v63
	v_add_f16_e32 v46, v46, v47
	v_add_f16_e32 v27, v8, v9
	;; [unrolled: 1-line block ×6, first 2 shown]
	v_sub_f16_e32 v75, v69, v76
	v_sub_f16_e32 v77, v80, v78
	v_fma_f16 v48, -0.5, v51, v24
	v_add_f16_e32 v51, v54, v55
	v_add_f16_e32 v54, v56, v57
	;; [unrolled: 1-line block ×4, first 2 shown]
	v_sub_f16_e32 v87, v76, v69
	v_sub_f16_e32 v88, v78, v80
	v_add_f16_e32 v3, v3, v14
	v_sub_f16_e32 v96, v15, v6
	v_fmac_f16_e32 v63, -0.5, v45
	v_sub_f16_e32 v45, v90, v94
	v_fmac_f16_e32 v24, -0.5, v52
	v_sub_f16_e32 v52, v8, v9
	v_sub_f16_e32 v55, v76, v78
	v_fma_f16 v56, -0.5, v58, v64
	v_fmac_f16_e32 v64, -0.5, v59
	v_sub_f16_e32 v11, v11, v26
	v_sub_f16_e32 v58, v81, v86
	v_add_f16_e32 v61, v61, v68
	v_add_f16_e32 v68, v71, v72
	;; [unrolled: 1-line block ×3, first 2 shown]
	v_fma_f16 v14, -0.5, v79, v37
	v_add_f16_e32 v74, v25, v83
	v_add_f16_e32 v79, v29, v32
	;; [unrolled: 1-line block ×5, first 2 shown]
	v_fma_f16 v25, -0.5, v27, v42
	v_fma_f16 v15, -0.5, v30, v42
	v_add_f16_e32 v8, v50, v8
	v_add_f16_e32 v42, v84, v76
	v_sub_f16_e32 v50, v31, v28
	v_add_f16_e32 v12, v12, v13
	v_sub_f16_e32 v13, v33, v35
	v_fma_f16 v76, -0.5, v91, v22
	v_sub_f16_e32 v95, v83, v85
	v_add_f16_e32 v72, v75, v77
	v_sub_f16_e32 v75, v7, v29
	v_sub_f16_e32 v77, v0, v32
	v_add_f16_e32 v81, v7, v0
	v_add_f16_e32 v27, v28, v35
	v_fma_f16 v57, -0.5, v57, v22
	v_sub_f16_e32 v4, v4, v5
	v_fmac_f16_e32 v37, -0.5, v82
	v_add_f16_e32 v73, v87, v88
	v_add_f16_e32 v82, v23, v7
	v_sub_f16_e32 v83, v29, v7
	v_sub_f16_e32 v87, v32, v0
	;; [unrolled: 1-line block ×4, first 2 shown]
	v_add_f16_e32 v30, v70, v28
	v_add_f16_e32 v22, v74, v85
	v_sub_f16_e32 v84, v28, v35
	v_sub_f16_e32 v7, v7, v0
	v_fma_f16 v79, -0.5, v79, v23
	v_fma_f16 v85, -0.5, v90, v70
	v_add_f16_e32 v13, v50, v13
	v_add_f16_e32 v50, v60, v94
	;; [unrolled: 1-line block ×4, first 2 shown]
	v_fmamk_f16 v42, v58, 0x3b9c, v76
	v_fmamk_f16 v60, v11, 0xbb9c, v97
	;; [unrolled: 1-line block ×3, first 2 shown]
	v_fmac_f16_e32 v64, 0xbb9c, v96
	v_sub_f16_e32 v74, v29, v32
	v_add_f16_e32 v75, v75, v77
	v_sub_f16_e32 v77, v31, v33
	v_fmac_f16_e32 v23, -0.5, v81
	v_fmac_f16_e32 v70, -0.5, v27
	v_add_f16_e32 v6, v53, v6
	v_fmamk_f16 v53, v95, 0xbb9c, v57
	v_fmac_f16_e32 v57, 0x3b9c, v95
	v_sub_f16_e32 v59, v93, v92
	v_sub_f16_e32 v49, v49, v10
	;; [unrolled: 1-line block ×3, first 2 shown]
	v_fmamk_f16 v78, v2, 0x3b9c, v63
	v_fmac_f16_e32 v63, 0xbb9c, v2
	v_fmac_f16_e32 v76, 0xbb9c, v58
	;; [unrolled: 1-line block ×3, first 2 shown]
	v_add_f16_e32 v81, v83, v87
	v_add_f16_e32 v83, v88, v89
	v_add_f16_e32 v82, v82, v29
	v_add_f16_e32 v31, v30, v31
	v_fmamk_f16 v89, v4, 0xbb9c, v56
	v_fmac_f16_e32 v56, 0x3b9c, v4
	v_add_f16_e32 v12, v12, v26
	v_fmac_f16_e32 v42, 0x38b4, v95
	v_fmac_f16_e32 v60, 0xb8b4, v2
	;; [unrolled: 1-line block ×4, first 2 shown]
	v_add_f16_e32 v26, v9, v80
	v_fmamk_f16 v4, v84, 0x3b9c, v79
	v_fmamk_f16 v9, v7, 0xbb9c, v85
	v_fmac_f16_e32 v53, 0x38b4, v58
	v_fmac_f16_e32 v57, 0xb8b4, v58
	v_add_f16_e32 v58, v22, v86
	v_add_f16_e32 v22, v8, v10
	v_fmamk_f16 v8, v77, 0xbb9c, v23
	v_fmac_f16_e32 v23, 0x3b9c, v77
	v_fmamk_f16 v10, v74, 0x3b9c, v70
	v_fmac_f16_e32 v70, 0xbb9c, v74
	v_fmac_f16_e32 v79, 0xbb9c, v84
	v_fmac_f16_e32 v85, 0x3b9c, v7
	v_fmamk_f16 v87, v59, 0x3b9c, v48
	v_fmac_f16_e32 v48, 0xbb9c, v59
	v_fmamk_f16 v88, v45, 0xbb9c, v24
	v_fmac_f16_e32 v24, 0x3b9c, v45
	;; [unrolled: 2-line block ×6, first 2 shown]
	v_fmac_f16_e32 v78, 0xb8b4, v11
	v_fmac_f16_e32 v63, 0x38b4, v11
	;; [unrolled: 1-line block ×4, first 2 shown]
	v_add_f16_e32 v2, v82, v32
	v_add_f16_e32 v11, v31, v33
	;; [unrolled: 1-line block ×4, first 2 shown]
	v_fmac_f16_e32 v42, 0x34f2, v1
	v_fmac_f16_e32 v60, 0x34f2, v34
	;; [unrolled: 1-line block ×30, first 2 shown]
	v_add_f16_e32 v0, v2, v0
	v_add_f16_e32 v1, v11, v35
	v_pack_b32_f16 v2, v12, v58
	v_pack_b32_f16 v3, v5, v6
	v_fmac_f16_e32 v4, 0x34f2, v75
	v_fmac_f16_e32 v9, 0x34f2, v83
	v_pack_b32_f16 v5, v42, v60
	v_fmac_f16_e32 v8, 0x34f2, v81
	v_fmac_f16_e32 v23, 0x34f2, v81
	v_fmac_f16_e32 v10, 0x34f2, v13
	v_fmac_f16_e32 v70, 0x34f2, v13
	v_fmac_f16_e32 v79, 0x34f2, v75
	v_fmac_f16_e32 v85, 0x34f2, v83
	v_fmac_f16_e32 v87, 0x34f2, v47
	v_fmac_f16_e32 v48, 0x34f2, v47
	v_fmac_f16_e32 v88, 0x34f2, v51
	v_fmac_f16_e32 v24, 0x34f2, v51
	v_fmac_f16_e32 v89, 0x34f2, v54
	v_fmac_f16_e32 v56, 0x34f2, v54
	v_fmac_f16_e32 v90, 0x34f2, v61
	v_fmac_f16_e32 v64, 0x34f2, v61
	v_fmac_f16_e32 v27, 0x34f2, v68
	v_fmac_f16_e32 v25, 0x34f2, v68
	v_fmac_f16_e32 v28, 0x34f2, v71
	v_fmac_f16_e32 v15, 0x34f2, v71
	v_fmac_f16_e32 v29, 0x34f2, v72
	v_fmac_f16_e32 v14, 0x34f2, v72
	v_fmac_f16_e32 v30, 0x34f2, v73
	v_fmac_f16_e32 v37, 0x34f2, v73
	v_pack_b32_f16 v6, v53, v78
	v_pack_b32_f16 v7, v57, v63
	;; [unrolled: 1-line block ×4, first 2 shown]
	ds_write2_b32 v66, v2, v5 offset1:5
	v_pack_b32_f16 v2, v4, v9
	v_pack_b32_f16 v4, v8, v10
	;; [unrolled: 1-line block ×8, first 2 shown]
	ds_write2_b32 v66, v6, v7 offset0:10 offset1:15
	ds_write_b32 v66, v11 offset:80
	ds_write2_b32 v67, v0, v2 offset1:5
	ds_write2_b32 v67, v4, v5 offset0:10 offset1:15
	ds_write_b32 v67, v8 offset:80
	ds_write2_b32 v65, v3, v1 offset1:5
	ds_write2_b32 v65, v12, v13 offset0:10 offset1:15
	ds_write_b32 v65, v24 offset:80
	s_and_saveexec_b32 s1, s0
	s_cbranch_execz .LBB0_25
; %bb.24:
	v_mul_lo_u16 v0, v43, 25
	v_lshlrev_b32_sdwa v1, v62, v44 dst_sel:DWORD dst_unused:UNUSED_PAD src0_sel:DWORD src1_sel:WORD_0
	v_perm_b32 v2, v26, v22, 0x5040100
	v_perm_b32 v3, v29, v27, 0x5040100
	;; [unrolled: 1-line block ×3, first 2 shown]
	v_lshlrev_b32_sdwa v0, v62, v0 dst_sel:DWORD dst_unused:UNUSED_PAD src0_sel:DWORD src1_sel:WORD_0
	v_perm_b32 v5, v14, v25, 0x5040100
	v_add3_u32 v0, 0, v1, v0
	v_perm_b32 v1, v37, v15, 0x5040100
	ds_write2_b32 v0, v2, v3 offset1:5
	ds_write2_b32 v0, v4, v1 offset0:10 offset1:15
	ds_write_b32 v0, v5 offset:80
.LBB0_25:
	s_or_b32 exec_lo, exec_lo, s1
	v_add_nc_u32_e32 v4, 0xc00, v36
	v_add_nc_u32_e32 v0, 0x300, v36
	v_add_nc_u32_e32 v5, 0x1000, v36
	v_add_nc_u32_e32 v6, 0x1800, v36
	v_add_nc_u32_e32 v7, 0x800, v36
	v_add_nc_u32_e32 v23, 0x1400, v36
	s_waitcnt lgkmcnt(0)
	s_barrier
	buffer_gl0_inv
	ds_read2_b32 v[2:3], v36 offset1:125
	ds_read2_b32 v[0:1], v0 offset0:58 offset1:208
	ds_read2_b32 v[12:13], v4 offset0:32 offset1:157
	;; [unrolled: 1-line block ×6, first 2 shown]
	ds_read_b32 v23, v36 offset:7400
	s_and_saveexec_b32 s1, s0
	s_cbranch_execz .LBB0_27
; %bb.26:
	ds_read_b32 v22, v36 offset:1500
	ds_read_b32 v27, v36 offset:3100
	;; [unrolled: 1-line block ×5, first 2 shown]
	s_waitcnt lgkmcnt(4)
	v_lshrrev_b32_e32 v26, 16, v22
	s_waitcnt lgkmcnt(3)
	v_lshrrev_b32_e32 v29, 16, v27
	;; [unrolled: 2-line block ×5, first 2 shown]
.LBB0_27:
	s_or_b32 exec_lo, exec_lo, s1
	v_mul_lo_u16 v24, v39, 41
	v_mov_b32_e32 v43, 4
	v_mov_b32_e32 v61, 0x1f4
	;; [unrolled: 1-line block ×3, first 2 shown]
	s_waitcnt lgkmcnt(6)
	v_lshrrev_b32_e32 v58, 16, v1
	v_lshrrev_b16 v47, 10, v24
	v_mul_lo_u16 v24, v41, 41
	s_waitcnt lgkmcnt(5)
	v_lshrrev_b32_e32 v59, 16, v12
	s_waitcnt lgkmcnt(4)
	v_lshrrev_b32_e32 v60, 16, v5
	;; [unrolled: 2-line block ×3, first 2 shown]
	v_mul_lo_u16 v31, v47, 25
	v_lshrrev_b16 v48, 10, v24
	v_mul_u32_u24_sdwa v47, v47, v61 dst_sel:DWORD dst_unused:UNUSED_PAD src0_sel:WORD_0 src1_sel:DWORD
	s_waitcnt lgkmcnt(2)
	v_lshrrev_b32_e32 v64, 16, v8
	v_lshrrev_b32_e32 v65, 16, v13
	v_sub_nc_u16 v49, v18, v31
	v_mul_lo_u16 v24, v48, 25
	v_mul_u32_u24_sdwa v48, v48, v61 dst_sel:DWORD dst_unused:UNUSED_PAD src0_sel:WORD_0 src1_sel:DWORD
	s_waitcnt lgkmcnt(1)
	v_lshrrev_b32_e32 v66, 16, v6
	v_lshrrev_b32_e32 v67, 16, v11
	v_lshlrev_b32_sdwa v31, v43, v49 dst_sel:DWORD dst_unused:UNUSED_PAD src0_sel:DWORD src1_sel:BYTE_0
	v_sub_nc_u16 v50, v40, v24
	v_lshlrev_b32_sdwa v49, v62, v49 dst_sel:DWORD dst_unused:UNUSED_PAD src0_sel:DWORD src1_sel:BYTE_0
	v_lshrrev_b32_e32 v52, 16, v2
	v_lshrrev_b32_e32 v53, 16, v3
	global_load_dwordx4 v[32:35], v31, s[12:13] offset:80
	v_lshlrev_b32_sdwa v24, v43, v50 dst_sel:DWORD dst_unused:UNUSED_PAD src0_sel:DWORD src1_sel:BYTE_0
	v_lshlrev_b32_sdwa v50, v62, v50 dst_sel:DWORD dst_unused:UNUSED_PAD src0_sel:DWORD src1_sel:BYTE_0
	v_add3_u32 v47, 0, v47, v49
	v_lshrrev_b32_e32 v54, 16, v9
	v_lshrrev_b32_e32 v55, 16, v4
	global_load_dwordx4 v[39:42], v24, s[12:13] offset:80
	v_mov_b32_e32 v24, 0x47af
	v_add3_u32 v48, 0, v48, v50
	v_lshrrev_b32_e32 v56, 16, v7
	s_waitcnt lgkmcnt(0)
	v_lshrrev_b32_e32 v57, 16, v23
	v_mul_u32_u24_sdwa v31, v38, v24 dst_sel:DWORD dst_unused:UNUSED_PAD src0_sel:WORD_0 src1_sel:DWORD
	v_lshrrev_b32_e32 v31, 16, v31
	v_sub_nc_u16 v44, v38, v31
	v_lshrrev_b16 v44, 1, v44
	v_add_nc_u16 v31, v44, v31
	v_lshrrev_b16 v51, 4, v31
	v_mul_lo_u16 v31, v51, 25
	v_mul_u32_u24_sdwa v49, v51, v61 dst_sel:DWORD dst_unused:UNUSED_PAD src0_sel:WORD_0 src1_sel:DWORD
	v_sub_nc_u16 v38, v38, v31
	v_lshlrev_b32_sdwa v31, v43, v38 dst_sel:DWORD dst_unused:UNUSED_PAD src0_sel:DWORD src1_sel:WORD_0
	v_lshlrev_b32_sdwa v38, v62, v38 dst_sel:DWORD dst_unused:UNUSED_PAD src0_sel:DWORD src1_sel:WORD_0
	global_load_dwordx4 v[43:46], v31, s[12:13] offset:80
	v_add3_u32 v38, 0, v49, v38
	v_lshrrev_b32_e32 v31, 16, v0
	s_waitcnt vmcnt(0)
	s_barrier
	buffer_gl0_inv
	v_mul_f16_sdwa v49, v32, v58 dst_sel:DWORD dst_unused:UNUSED_PAD src0_sel:WORD_1 src1_sel:DWORD
	v_mul_f16_sdwa v50, v32, v1 dst_sel:DWORD dst_unused:UNUSED_PAD src0_sel:WORD_1 src1_sel:DWORD
	;; [unrolled: 1-line block ×16, first 2 shown]
	v_fma_f16 v1, v32, v1, -v49
	v_fmac_f16_e32 v50, v32, v58
	v_fma_f16 v12, v33, v12, -v51
	v_fmac_f16_e32 v61, v33, v59
	;; [unrolled: 2-line block ×5, first 2 shown]
	v_fmac_f16_e32 v74, v40, v65
	v_fmac_f16_e32 v76, v41, v66
	;; [unrolled: 1-line block ×3, first 2 shown]
	v_fma_f16 v13, v40, v13, -v73
	v_fma_f16 v6, v41, v6, -v75
	;; [unrolled: 1-line block ×3, first 2 shown]
	v_add_f16_e32 v32, v2, v1
	v_add_f16_e32 v33, v12, v5
	v_sub_f16_e32 v39, v1, v12
	v_sub_f16_e32 v40, v10, v5
	v_add_f16_e32 v41, v1, v10
	v_sub_f16_e32 v42, v12, v1
	v_sub_f16_e32 v49, v5, v10
	v_add_f16_e32 v51, v52, v50
	v_add_f16_e32 v58, v61, v68
	v_sub_f16_e32 v60, v50, v61
	v_sub_f16_e32 v62, v70, v68
	v_add_f16_e32 v63, v50, v70
	v_add_f16_e32 v65, v3, v8
	;; [unrolled: 1-line block ×5, first 2 shown]
	v_sub_f16_e32 v34, v50, v70
	v_sub_f16_e32 v50, v61, v50
	;; [unrolled: 1-line block ×3, first 2 shown]
	v_add_f16_e32 v66, v13, v6
	v_sub_f16_e32 v35, v61, v68
	v_sub_f16_e32 v1, v1, v10
	v_sub_f16_e32 v59, v12, v5
	v_sub_f16_e32 v67, v72, v78
	v_sub_f16_e32 v71, v8, v13
	v_sub_f16_e32 v73, v11, v6
	v_add_f16_e32 v75, v8, v11
	v_sub_f16_e32 v77, v13, v8
	v_sub_f16_e32 v79, v6, v11
	;; [unrolled: 1-line block ×6, first 2 shown]
	v_add_f16_e32 v12, v32, v12
	v_fma_f16 v32, -0.5, v33, v2
	v_add_f16_e32 v33, v39, v40
	v_fma_f16 v2, -0.5, v41, v2
	v_add_f16_e32 v39, v42, v49
	v_add_f16_e32 v40, v51, v61
	v_fma_f16 v41, -0.5, v58, v52
	v_add_f16_e32 v42, v60, v62
	v_fmac_f16_e32 v52, -0.5, v63
	v_add_f16_e32 v13, v65, v13
	v_add_f16_e32 v60, v80, v74
	v_fma_f16 v61, -0.5, v81, v53
	v_fmac_f16_e32 v53, -0.5, v85
	v_sub_f16_e32 v8, v8, v11
	v_add_f16_e32 v49, v50, v64
	v_fma_f16 v50, -0.5, v66, v3
	v_sub_f16_e32 v69, v74, v76
	v_sub_f16_e32 v84, v78, v76
	v_add_f16_e32 v51, v71, v73
	v_fmac_f16_e32 v3, -0.5, v75
	v_add_f16_e32 v58, v77, v79
	v_add_f16_e32 v63, v72, v86
	v_add_f16_e32 v5, v12, v5
	v_fmamk_f16 v12, v34, 0x3b9c, v32
	v_add_f16_e32 v40, v40, v68
	v_fmamk_f16 v65, v1, 0xbb9c, v41
	v_fmamk_f16 v66, v59, 0x3b9c, v52
	v_fmac_f16_e32 v52, 0xbb9c, v59
	v_add_f16_e32 v6, v13, v6
	v_add_f16_e32 v60, v60, v76
	v_fmamk_f16 v72, v82, 0x3b9c, v53
	v_fmac_f16_e32 v53, 0xbb9c, v82
	v_mul_f16_sdwa v73, v54, v43 dst_sel:DWORD dst_unused:UNUSED_PAD src0_sel:DWORD src1_sel:WORD_1
	v_mul_f16_sdwa v75, v55, v44 dst_sel:DWORD dst_unused:UNUSED_PAD src0_sel:DWORD src1_sel:WORD_1
	;; [unrolled: 1-line block ×6, first 2 shown]
	v_fmamk_f16 v64, v35, 0xbb9c, v2
	v_fmac_f16_e32 v2, 0x3b9c, v35
	v_mul_f16_sdwa v74, v9, v43 dst_sel:DWORD dst_unused:UNUSED_PAD src0_sel:DWORD src1_sel:WORD_1
	v_mul_f16_sdwa v81, v23, v46 dst_sel:DWORD dst_unused:UNUSED_PAD src0_sel:DWORD src1_sel:WORD_1
	v_fmac_f16_e32 v32, 0xbb9c, v34
	v_fmac_f16_e32 v41, 0x3b9c, v1
	v_fmamk_f16 v13, v67, 0x3b9c, v50
	v_fmamk_f16 v71, v8, 0xbb9c, v61
	v_fmac_f16_e32 v61, 0x3b9c, v8
	v_add_f16_e32 v5, v5, v10
	v_fmac_f16_e32 v12, 0x38b4, v35
	v_add_f16_e32 v10, v40, v70
	v_fmac_f16_e32 v65, 0xb8b4, v59
	v_fmac_f16_e32 v66, 0xb8b4, v1
	;; [unrolled: 1-line block ×3, first 2 shown]
	v_add_f16_e32 v1, v6, v11
	v_add_f16_e32 v6, v60, v78
	v_fmac_f16_e32 v72, 0xb8b4, v8
	v_fmac_f16_e32 v53, 0x38b4, v8
	v_fma_f16 v8, v9, v43, -v73
	v_fma_f16 v4, v4, v44, -v75
	v_fmac_f16_e32 v76, v55, v44
	v_fma_f16 v7, v7, v45, -v77
	v_fmac_f16_e32 v79, v56, v45
	;; [unrolled: 2-line block ×3, first 2 shown]
	v_fmac_f16_e32 v2, 0xb8b4, v34
	v_fmac_f16_e32 v74, v54, v43
	;; [unrolled: 1-line block ×5, first 2 shown]
	v_add_f16_e32 v62, v83, v84
	v_fmac_f16_e32 v13, 0x38b4, v69
	v_fmac_f16_e32 v71, 0xb8b4, v82
	;; [unrolled: 1-line block ×4, first 2 shown]
	v_pack_b32_f16 v5, v5, v10
	v_pack_b32_f16 v1, v1, v6
	v_add_f16_e32 v6, v0, v8
	v_add_f16_e32 v10, v4, v7
	;; [unrolled: 1-line block ×4, first 2 shown]
	v_fmac_f16_e32 v50, 0xbb9c, v67
	v_fmac_f16_e32 v64, 0x34f2, v39
	;; [unrolled: 1-line block ×5, first 2 shown]
	v_add_f16_e32 v49, v74, v81
	v_fmac_f16_e32 v32, 0x34f2, v33
	v_fmac_f16_e32 v41, 0x34f2, v42
	;; [unrolled: 1-line block ×4, first 2 shown]
	v_sub_f16_e32 v11, v74, v81
	v_sub_f16_e32 v33, v8, v4
	;; [unrolled: 1-line block ×4, first 2 shown]
	v_add_f16_e32 v42, v31, v74
	v_sub_f16_e32 v8, v8, v9
	v_sub_f16_e32 v44, v4, v7
	v_pack_b32_f16 v12, v12, v65
	v_add_f16_e32 v4, v6, v4
	v_fma_f16 v6, -0.5, v10, v0
	v_fmac_f16_e32 v0, -0.5, v35
	v_fma_f16 v35, -0.5, v43, v31
	v_fmac_f16_e32 v50, 0xb8b4, v69
	v_sub_f16_e32 v23, v76, v79
	v_pack_b32_f16 v55, v64, v66
	v_pack_b32_f16 v2, v2, v52
	v_fmac_f16_e32 v31, -0.5, v49
	v_pack_b32_f16 v32, v32, v41
	v_fmamk_f16 v68, v69, 0xbb9c, v3
	v_fmac_f16_e32 v3, 0x3b9c, v69
	v_pack_b32_f16 v13, v13, v71
	v_sub_f16_e32 v40, v7, v9
	v_sub_f16_e32 v45, v74, v76
	;; [unrolled: 1-line block ×3, first 2 shown]
	v_add_f16_e32 v10, v33, v34
	v_add_f16_e32 v34, v42, v76
	ds_write2_b32 v47, v5, v12 offset1:25
	ds_write2_b32 v47, v55, v2 offset0:50 offset1:75
	ds_write_b32 v47, v32 offset:400
	ds_write2_b32 v48, v1, v13 offset1:25
	v_add_f16_e32 v1, v4, v7
	v_fmamk_f16 v2, v11, 0x3b9c, v6
	v_fmamk_f16 v7, v8, 0xbb9c, v35
	v_fmac_f16_e32 v50, 0x34f2, v51
	v_sub_f16_e32 v51, v76, v74
	v_sub_f16_e32 v54, v79, v81
	v_fmamk_f16 v4, v23, 0xbb9c, v0
	v_fmac_f16_e32 v0, 0x3b9c, v23
	v_fmamk_f16 v12, v44, 0x3b9c, v31
	v_fmac_f16_e32 v31, 0xbb9c, v44
	v_fmac_f16_e32 v6, 0xbb9c, v11
	;; [unrolled: 1-line block ×6, first 2 shown]
	v_add_f16_e32 v33, v39, v40
	v_add_f16_e32 v39, v45, v46
	;; [unrolled: 1-line block ×3, first 2 shown]
	v_fmac_f16_e32 v2, 0x38b4, v23
	v_fmac_f16_e32 v7, 0xb8b4, v44
	v_add_f16_e32 v40, v51, v54
	v_fmac_f16_e32 v4, 0x38b4, v11
	v_fmac_f16_e32 v0, 0xb8b4, v11
	;; [unrolled: 1-line block ×11, first 2 shown]
	v_add_f16_e32 v1, v1, v9
	v_add_f16_e32 v5, v5, v81
	v_fmac_f16_e32 v2, 0x34f2, v10
	v_fmac_f16_e32 v7, 0x34f2, v39
	;; [unrolled: 1-line block ×8, first 2 shown]
	v_pack_b32_f16 v41, v68, v72
	v_pack_b32_f16 v3, v3, v53
	;; [unrolled: 1-line block ×8, first 2 shown]
	ds_write2_b32 v48, v41, v3 offset0:50 offset1:75
	ds_write_b32 v48, v50 offset:400
	ds_write2_b32 v38, v1, v2 offset1:25
	ds_write2_b32 v38, v4, v0 offset0:50 offset1:75
	ds_write_b32 v38, v5 offset:400
	s_and_saveexec_b32 s1, s0
	s_cbranch_execz .LBB0_29
; %bb.28:
	v_mul_u32_u24_sdwa v0, v19, v24 dst_sel:DWORD dst_unused:UNUSED_PAD src0_sel:WORD_0 src1_sel:DWORD
	v_lshrrev_b32_e32 v0, 16, v0
	v_sub_nc_u16 v1, v19, v0
	v_lshrrev_b16 v1, 1, v1
	v_add_nc_u16 v0, v1, v0
	v_lshrrev_b16 v0, 4, v0
	v_mul_lo_u16 v0, v0, 25
	v_sub_nc_u16 v0, v19, v0
	v_and_b32_e32 v4, 0xffff, v0
	v_lshlrev_b32_e32 v0, 4, v4
	v_lshl_add_u32 v4, v4, 2, 0
	global_load_dwordx4 v[0:3], v0, s[12:13] offset:80
	v_add_nc_u32_e32 v5, 0x1c00, v4
	s_waitcnt vmcnt(0)
	v_mul_f16_sdwa v6, v25, v3 dst_sel:DWORD dst_unused:UNUSED_PAD src0_sel:DWORD src1_sel:WORD_1
	v_mul_f16_sdwa v7, v15, v2 dst_sel:DWORD dst_unused:UNUSED_PAD src0_sel:DWORD src1_sel:WORD_1
	;; [unrolled: 1-line block ×8, first 2 shown]
	v_fmac_f16_e32 v6, v14, v3
	v_fmac_f16_e32 v7, v37, v2
	;; [unrolled: 1-line block ×4, first 2 shown]
	v_fma_f16 v0, v27, v0, -v10
	v_fma_f16 v1, v28, v1, -v11
	v_fma_f16 v2, v15, v2, -v12
	v_fma_f16 v3, v25, v3, -v13
	v_add_f16_e32 v10, v26, v9
	v_add_f16_e32 v11, v22, v0
	;; [unrolled: 1-line block ×6, first 2 shown]
	v_sub_f16_e32 v12, v8, v9
	v_sub_f16_e32 v13, v7, v6
	;; [unrolled: 1-line block ×10, first 2 shown]
	v_add_f16_e32 v8, v10, v8
	v_add_f16_e32 v1, v11, v1
	v_fma_f16 v11, -0.5, v15, v26
	v_fmac_f16_e32 v26, -0.5, v25
	v_fma_f16 v15, -0.5, v29, v22
	v_fmac_f16_e32 v22, -0.5, v32
	v_sub_f16_e32 v31, v3, v2
	v_add_f16_e32 v10, v12, v13
	v_add_f16_e32 v12, v23, v24
	;; [unrolled: 1-line block ×3, first 2 shown]
	v_fmamk_f16 v8, v14, 0x3b9c, v26
	v_fmac_f16_e32 v26, 0xbb9c, v14
	v_fmamk_f16 v24, v9, 0xbb9c, v22
	v_fmac_f16_e32 v22, 0x3b9c, v9
	v_sub_f16_e32 v28, v2, v3
	v_add_f16_e32 v1, v1, v2
	v_fmamk_f16 v2, v19, 0xbb9c, v11
	v_fmac_f16_e32 v11, 0x3b9c, v19
	v_fmamk_f16 v23, v30, 0x3b9c, v15
	v_fmac_f16_e32 v15, 0xbb9c, v30
	v_add_f16_e32 v0, v0, v31
	v_fmac_f16_e32 v26, 0xb8b4, v19
	v_fmac_f16_e32 v22, 0x38b4, v30
	v_add_f16_e32 v13, v27, v28
	v_fmac_f16_e32 v2, 0x38b4, v14
	v_fmac_f16_e32 v11, 0xb8b4, v14
	v_fmac_f16_e32 v23, 0xb8b4, v9
	v_fmac_f16_e32 v15, 0x38b4, v9
	v_fmac_f16_e32 v8, 0x38b4, v19
	v_fmac_f16_e32 v24, 0xb8b4, v30
	v_add_f16_e32 v6, v7, v6
	v_add_f16_e32 v1, v1, v3
	v_fmac_f16_e32 v26, 0x34f2, v12
	v_fmac_f16_e32 v22, 0x34f2, v0
	;; [unrolled: 1-line block ×8, first 2 shown]
	v_pack_b32_f16 v0, v1, v6
	v_pack_b32_f16 v1, v22, v26
	;; [unrolled: 1-line block ×5, first 2 shown]
	ds_write2_b32 v5, v0, v1 offset0:83 offset1:108
	ds_write2_b32 v5, v3, v2 offset0:133 offset1:158
	ds_write_b32 v4, v6 offset:7900
.LBB0_29:
	s_or_b32 exec_lo, exec_lo, s1
	v_mul_u32_u24_e32 v0, 15, v18
	s_waitcnt lgkmcnt(0)
	s_barrier
	buffer_gl0_inv
	v_add_nc_u32_e32 v15, 0x600, v36
	v_lshlrev_b32_e32 v12, 2, v0
	v_add_nc_u32_e32 v39, 0xe00, v36
	v_add_nc_u32_e32 v40, 0x1200, v36
	;; [unrolled: 1-line block ×4, first 2 shown]
	s_clause 0x3
	global_load_dwordx4 v[0:3], v12, s[12:13] offset:480
	global_load_dwordx4 v[4:7], v12, s[12:13] offset:496
	;; [unrolled: 1-line block ×3, first 2 shown]
	global_load_dwordx3 v[12:14], v12, s[12:13] offset:528
	v_add_nc_u32_e32 v42, 0x1a00, v36
	v_add_nc_u32_e32 v43, 0x200, v36
	ds_read2_b32 v[22:23], v36 offset1:125
	ds_read2_b32 v[24:25], v15 offset0:116 offset1:241
	ds_read2_b32 v[26:27], v19 offset0:110 offset1:235
	ds_read2_b32 v[28:29], v39 offset0:104 offset1:229
	ds_read2_b32 v[30:31], v40 offset0:98 offset1:223
	ds_read2_b32 v[32:33], v41 offset0:92 offset1:217
	ds_read2_b32 v[34:35], v42 offset0:86 offset1:211
	ds_read2_b32 v[37:38], v43 offset0:122 offset1:247
	s_waitcnt vmcnt(0) lgkmcnt(0)
	s_barrier
	buffer_gl0_inv
	v_lshrrev_b32_e32 v46, 16, v25
	v_lshrrev_b32_e32 v44, 16, v23
	;; [unrolled: 1-line block ×16, first 2 shown]
	v_mul_f16_sdwa v60, v0, v44 dst_sel:DWORD dst_unused:UNUSED_PAD src0_sel:WORD_1 src1_sel:DWORD
	v_mul_f16_sdwa v61, v0, v23 dst_sel:DWORD dst_unused:UNUSED_PAD src0_sel:WORD_1 src1_sel:DWORD
	;; [unrolled: 1-line block ×8, first 2 shown]
	v_mul_f16_sdwa v68, v46, v4 dst_sel:DWORD dst_unused:UNUSED_PAD src0_sel:DWORD src1_sel:WORD_1
	v_mul_f16_sdwa v69, v25, v4 dst_sel:DWORD dst_unused:UNUSED_PAD src0_sel:DWORD src1_sel:WORD_1
	;; [unrolled: 1-line block ×22, first 2 shown]
	v_fma_f16 v23, v0, v23, -v60
	v_fmac_f16_e32 v61, v0, v44
	v_fma_f16 v0, v1, v37, -v62
	v_fmac_f16_e32 v63, v1, v57
	;; [unrolled: 2-line block ×15, first 2 shown]
	v_sub_f16_e32 v6, v22, v6
	v_sub_f16_e32 v14, v45, v75
	v_sub_f16_e32 v10, v2, v10
	v_sub_f16_e32 v24, v67, v83
	v_sub_f16_e32 v8, v0, v8
	v_sub_f16_e32 v25, v63, v79
	v_sub_f16_e32 v12, v4, v12
	v_sub_f16_e32 v26, v71, v87
	v_sub_f16_e32 v7, v23, v7
	v_sub_f16_e32 v27, v61, v77
	v_sub_f16_e32 v11, v3, v11
	v_sub_f16_e32 v28, v69, v85
	v_sub_f16_e32 v9, v1, v9
	v_sub_f16_e32 v29, v65, v81
	v_sub_f16_e32 v13, v5, v13
	v_sub_f16_e32 v30, v73, v89
	v_fma_f16 v22, v22, 2.0, -v6
	v_fma_f16 v31, v45, 2.0, -v14
	;; [unrolled: 1-line block ×16, first 2 shown]
	v_sub_f16_e32 v24, v6, v24
	v_add_f16_e32 v10, v14, v10
	v_sub_f16_e32 v26, v8, v26
	v_add_f16_e32 v12, v25, v12
	;; [unrolled: 2-line block ×4, first 2 shown]
	v_sub_f16_e32 v2, v22, v2
	v_sub_f16_e32 v32, v31, v32
	v_fma_f16 v6, v6, 2.0, -v24
	v_fma_f16 v14, v14, 2.0, -v10
	v_sub_f16_e32 v4, v0, v4
	v_sub_f16_e32 v34, v33, v34
	v_fma_f16 v8, v8, 2.0, -v26
	v_fma_f16 v25, v25, 2.0, -v12
	;; [unrolled: 4-line block ×4, first 2 shown]
	v_fmamk_f16 v45, v26, 0x39a8, v24
	v_fmamk_f16 v46, v12, 0x39a8, v10
	;; [unrolled: 1-line block ×4, first 2 shown]
	v_fma_f16 v22, v22, 2.0, -v2
	v_fma_f16 v31, v31, 2.0, -v32
	v_fma_f16 v0, v0, 2.0, -v4
	v_fma_f16 v33, v33, 2.0, -v34
	v_fma_f16 v23, v23, 2.0, -v3
	v_fma_f16 v35, v35, 2.0, -v37
	v_fma_f16 v1, v1, 2.0, -v5
	v_fma_f16 v38, v38, 2.0, -v44
	v_fmamk_f16 v49, v8, 0xb9a8, v6
	v_fmamk_f16 v50, v25, 0xb9a8, v14
	v_fmac_f16_e32 v45, 0xb9a8, v12
	v_fmac_f16_e32 v46, 0x39a8, v26
	v_fmamk_f16 v12, v9, 0xb9a8, v7
	v_fmamk_f16 v26, v29, 0xb9a8, v27
	v_sub_f16_e32 v34, v2, v34
	v_add_f16_e32 v4, v32, v4
	v_sub_f16_e32 v44, v3, v44
	v_add_f16_e32 v5, v37, v5
	v_fmac_f16_e32 v47, 0xb9a8, v13
	v_fmac_f16_e32 v48, 0x39a8, v30
	v_sub_f16_e32 v0, v22, v0
	v_sub_f16_e32 v13, v31, v33
	v_fmac_f16_e32 v49, 0xb9a8, v25
	v_fmac_f16_e32 v50, 0x39a8, v8
	v_sub_f16_e32 v1, v23, v1
	v_sub_f16_e32 v25, v35, v38
	v_fmac_f16_e32 v12, 0xb9a8, v29
	v_fmac_f16_e32 v26, 0x39a8, v9
	v_fma_f16 v2, v2, 2.0, -v34
	v_fma_f16 v8, v32, 2.0, -v4
	;; [unrolled: 1-line block ×8, first 2 shown]
	v_fmamk_f16 v29, v44, 0x39a8, v34
	v_fmamk_f16 v30, v5, 0x39a8, v4
	;; [unrolled: 1-line block ×4, first 2 shown]
	v_fma_f16 v22, v22, 2.0, -v0
	v_fma_f16 v31, v31, 2.0, -v13
	;; [unrolled: 1-line block ×8, first 2 shown]
	v_fmamk_f16 v37, v3, 0xb9a8, v2
	v_fmamk_f16 v38, v9, 0xb9a8, v8
	;; [unrolled: 1-line block ×6, first 2 shown]
	v_sub_f16_e32 v25, v0, v25
	v_add_f16_e32 v1, v13, v1
	v_fmac_f16_e32 v29, 0xb9a8, v5
	v_fmac_f16_e32 v30, 0x39a8, v44
	;; [unrolled: 1-line block ×4, first 2 shown]
	v_sub_f16_e32 v5, v22, v23
	v_sub_f16_e32 v23, v31, v35
	v_fmamk_f16 v35, v7, 0xbb64, v6
	v_fmamk_f16 v44, v27, 0xbb64, v14
	v_fmac_f16_e32 v37, 0xb9a8, v9
	v_fmac_f16_e32 v38, 0x39a8, v3
	;; [unrolled: 1-line block ×6, first 2 shown]
	v_fma_f16 v0, v0, 2.0, -v25
	v_fma_f16 v3, v13, 2.0, -v1
	;; [unrolled: 1-line block ×6, first 2 shown]
	v_pack_b32_f16 v1, v25, v1
	v_pack_b32_f16 v13, v29, v30
	;; [unrolled: 1-line block ×3, first 2 shown]
	v_fmac_f16_e32 v35, 0xb61f, v27
	v_fmac_f16_e32 v44, 0x361f, v7
	v_fma_f16 v2, v2, 2.0, -v37
	v_fma_f16 v7, v8, 2.0, -v38
	;; [unrolled: 1-line block ×6, first 2 shown]
	v_pack_b32_f16 v0, v0, v3
	v_pack_b32_f16 v3, v9, v4
	;; [unrolled: 1-line block ×3, first 2 shown]
	v_fma_f16 v22, v22, 2.0, -v5
	v_fma_f16 v26, v31, 2.0, -v23
	ds_write2_b32 v42, v13, v25 offset0:86 offset1:211
	v_fma_f16 v6, v6, 2.0, -v35
	v_fma_f16 v13, v14, 2.0, -v44
	v_pack_b32_f16 v9, v37, v38
	v_pack_b32_f16 v11, v51, v52
	;; [unrolled: 1-line block ×7, first 2 shown]
	ds_write2_b32 v19, v3, v4 offset0:110 offset1:235
	v_pack_b32_f16 v3, v35, v44
	v_pack_b32_f16 v14, v22, v26
	;; [unrolled: 1-line block ×3, first 2 shown]
	ds_write2_b32 v40, v9, v11 offset0:98 offset1:223
	ds_write2_b32 v41, v1, v12 offset0:92 offset1:217
	;; [unrolled: 1-line block ×5, first 2 shown]
	ds_write2_b32 v36, v14, v4 offset1:125
	s_waitcnt lgkmcnt(0)
	s_barrier
	buffer_gl0_inv
	s_and_saveexec_b32 s0, vcc_lo
	s_cbranch_execz .LBB0_31
; %bb.30:
	v_mul_lo_u32 v2, s3, v20
	v_mul_lo_u32 v3, s2, v21
	v_mad_u64_u32 v[0:1], null, s2, v20, 0
	v_lshl_add_u32 v20, v18, 2, 0
	v_mov_b32_e32 v19, 0
	v_add_nc_u32_e32 v4, 0x7d, v18
	v_add_nc_u32_e32 v6, 0xfa, v18
	;; [unrolled: 1-line block ×3, first 2 shown]
	v_add3_u32 v1, v1, v3, v2
	v_lshlrev_b64 v[2:3], 2, v[16:17]
	ds_read2_b32 v[8:9], v20 offset1:125
	v_mov_b32_e32 v5, v19
	v_lshlrev_b64 v[10:11], 2, v[18:19]
	v_lshlrev_b64 v[0:1], 2, v[0:1]
	v_mov_b32_e32 v7, v19
	v_mov_b32_e32 v15, v19
	v_lshlrev_b64 v[6:7], 2, v[6:7]
	v_add_co_u32 v13, vcc_lo, s10, v0
	v_add_co_ci_u32_e32 v14, vcc_lo, s11, v1, vcc_lo
	ds_read2_b32 v[0:1], v12 offset0:122 offset1:247
	v_add_co_u32 v16, vcc_lo, v13, v2
	v_add_co_ci_u32_e32 v17, vcc_lo, v14, v3, vcc_lo
	v_lshlrev_b64 v[2:3], 2, v[4:5]
	v_add_co_u32 v4, vcc_lo, v16, v10
	v_add_co_ci_u32_e32 v5, vcc_lo, v17, v11, vcc_lo
	v_add_nc_u32_e32 v10, 0x177, v18
	v_add_co_u32 v2, vcc_lo, v16, v2
	v_add_co_ci_u32_e32 v3, vcc_lo, v17, v3, vcc_lo
	v_add_co_u32 v6, vcc_lo, v16, v6
	v_add_co_ci_u32_e32 v7, vcc_lo, v17, v7, vcc_lo
	v_mov_b32_e32 v11, v19
	s_waitcnt lgkmcnt(1)
	global_store_dword v[4:5], v8, off
	global_store_dword v[2:3], v9, off
	s_waitcnt lgkmcnt(0)
	global_store_dword v[6:7], v0, off
	v_add_nc_u32_e32 v0, 0x600, v20
	v_add_nc_u32_e32 v4, 0x1f4, v18
	v_mov_b32_e32 v5, v19
	v_lshlrev_b64 v[2:3], 2, v[10:11]
	v_add_nc_u32_e32 v11, 0xa00, v20
	ds_read2_b32 v[8:9], v0 offset0:116 offset1:241
	v_add_nc_u32_e32 v6, 0x271, v18
	v_mov_b32_e32 v7, v19
	v_lshlrev_b64 v[4:5], 2, v[4:5]
	ds_read2_b32 v[12:13], v11 offset0:110 offset1:235
	v_add_nc_u32_e32 v10, 0x2ee, v18
	v_mov_b32_e32 v11, v19
	v_add_co_u32 v2, vcc_lo, v16, v2
	v_lshlrev_b64 v[6:7], 2, v[6:7]
	v_add_co_ci_u32_e32 v3, vcc_lo, v17, v3, vcc_lo
	v_add_co_u32 v4, vcc_lo, v16, v4
	v_lshlrev_b64 v[10:11], 2, v[10:11]
	v_add_co_ci_u32_e32 v5, vcc_lo, v17, v5, vcc_lo
	v_add_co_u32 v6, vcc_lo, v16, v6
	v_add_co_ci_u32_e32 v7, vcc_lo, v17, v7, vcc_lo
	v_add_co_u32 v10, vcc_lo, v16, v10
	v_add_co_ci_u32_e32 v11, vcc_lo, v17, v11, vcc_lo
	v_add_nc_u32_e32 v14, 0x36b, v18
	global_store_dword v[2:3], v1, off
	s_waitcnt lgkmcnt(1)
	global_store_dword v[4:5], v8, off
	global_store_dword v[6:7], v9, off
	s_waitcnt lgkmcnt(0)
	global_store_dword v[10:11], v12, off
	v_add_nc_u32_e32 v6, 0xe00, v20
	v_add_nc_u32_e32 v9, 0x1200, v20
	;; [unrolled: 1-line block ×3, first 2 shown]
	v_mov_b32_e32 v3, v19
	v_lshlrev_b64 v[0:1], 2, v[14:15]
	ds_read2_b32 v[6:7], v6 offset0:104 offset1:229
	v_add_nc_u32_e32 v4, 0x465, v18
	v_mov_b32_e32 v5, v19
	ds_read2_b32 v[10:11], v9 offset0:98 offset1:223
	v_lshlrev_b64 v[2:3], 2, v[2:3]
	v_add_nc_u32_e32 v8, 0x4e2, v18
	v_mov_b32_e32 v9, v19
	v_add_co_u32 v0, vcc_lo, v16, v0
	v_lshlrev_b64 v[4:5], 2, v[4:5]
	v_add_co_ci_u32_e32 v1, vcc_lo, v17, v1, vcc_lo
	v_add_co_u32 v2, vcc_lo, v16, v2
	v_lshlrev_b64 v[8:9], 2, v[8:9]
	v_add_co_ci_u32_e32 v3, vcc_lo, v17, v3, vcc_lo
	v_add_co_u32 v4, vcc_lo, v16, v4
	v_add_co_ci_u32_e32 v5, vcc_lo, v17, v5, vcc_lo
	v_add_co_u32 v8, vcc_lo, v16, v8
	v_add_co_ci_u32_e32 v9, vcc_lo, v17, v9, vcc_lo
	v_add_nc_u32_e32 v14, 0x55f, v18
	global_store_dword v[0:1], v13, off
	s_waitcnt lgkmcnt(1)
	global_store_dword v[2:3], v6, off
	global_store_dword v[4:5], v7, off
	s_waitcnt lgkmcnt(0)
	global_store_dword v[8:9], v10, off
	v_add_nc_u32_e32 v6, 0x1600, v20
	v_add_nc_u32_e32 v2, 0x5dc, v18
	v_mov_b32_e32 v3, v19
	v_add_nc_u32_e32 v10, 0x1a00, v20
	v_lshlrev_b64 v[0:1], 2, v[14:15]
	v_add_nc_u32_e32 v4, 0x659, v18
	v_mov_b32_e32 v5, v19
	ds_read2_b32 v[6:7], v6 offset0:92 offset1:217
	v_lshlrev_b64 v[2:3], 2, v[2:3]
	v_add_nc_u32_e32 v8, 0x6d6, v18
	v_mov_b32_e32 v9, v19
	ds_read2_b32 v[12:13], v10 offset0:86 offset1:211
	v_add_co_u32 v0, vcc_lo, v16, v0
	v_lshlrev_b64 v[4:5], 2, v[4:5]
	v_add_nc_u32_e32 v18, 0x753, v18
	v_add_co_ci_u32_e32 v1, vcc_lo, v17, v1, vcc_lo
	v_add_co_u32 v2, vcc_lo, v16, v2
	v_lshlrev_b64 v[8:9], 2, v[8:9]
	v_add_co_ci_u32_e32 v3, vcc_lo, v17, v3, vcc_lo
	v_add_co_u32 v4, vcc_lo, v16, v4
	v_lshlrev_b64 v[14:15], 2, v[18:19]
	v_add_co_ci_u32_e32 v5, vcc_lo, v17, v5, vcc_lo
	v_add_co_u32 v8, vcc_lo, v16, v8
	v_add_co_ci_u32_e32 v9, vcc_lo, v17, v9, vcc_lo
	v_add_co_u32 v14, vcc_lo, v16, v14
	v_add_co_ci_u32_e32 v15, vcc_lo, v17, v15, vcc_lo
	global_store_dword v[0:1], v11, off
	s_waitcnt lgkmcnt(1)
	global_store_dword v[2:3], v6, off
	global_store_dword v[4:5], v7, off
	s_waitcnt lgkmcnt(0)
	global_store_dword v[8:9], v12, off
	global_store_dword v[14:15], v13, off
.LBB0_31:
	s_endpgm
	.section	.rodata,"a",@progbits
	.p2align	6, 0x0
	.amdhsa_kernel fft_rtc_fwd_len2000_factors_5_5_5_16_wgs_125_tpt_125_halfLds_half_op_CI_CI_unitstride_sbrr_C2R_dirReg
		.amdhsa_group_segment_fixed_size 0
		.amdhsa_private_segment_fixed_size 0
		.amdhsa_kernarg_size 104
		.amdhsa_user_sgpr_count 6
		.amdhsa_user_sgpr_private_segment_buffer 1
		.amdhsa_user_sgpr_dispatch_ptr 0
		.amdhsa_user_sgpr_queue_ptr 0
		.amdhsa_user_sgpr_kernarg_segment_ptr 1
		.amdhsa_user_sgpr_dispatch_id 0
		.amdhsa_user_sgpr_flat_scratch_init 0
		.amdhsa_user_sgpr_private_segment_size 0
		.amdhsa_wavefront_size32 1
		.amdhsa_uses_dynamic_stack 0
		.amdhsa_system_sgpr_private_segment_wavefront_offset 0
		.amdhsa_system_sgpr_workgroup_id_x 1
		.amdhsa_system_sgpr_workgroup_id_y 0
		.amdhsa_system_sgpr_workgroup_id_z 0
		.amdhsa_system_sgpr_workgroup_info 0
		.amdhsa_system_vgpr_workitem_id 0
		.amdhsa_next_free_vgpr 98
		.amdhsa_next_free_sgpr 27
		.amdhsa_reserve_vcc 1
		.amdhsa_reserve_flat_scratch 0
		.amdhsa_float_round_mode_32 0
		.amdhsa_float_round_mode_16_64 0
		.amdhsa_float_denorm_mode_32 3
		.amdhsa_float_denorm_mode_16_64 3
		.amdhsa_dx10_clamp 1
		.amdhsa_ieee_mode 1
		.amdhsa_fp16_overflow 0
		.amdhsa_workgroup_processor_mode 1
		.amdhsa_memory_ordered 1
		.amdhsa_forward_progress 0
		.amdhsa_shared_vgpr_count 0
		.amdhsa_exception_fp_ieee_invalid_op 0
		.amdhsa_exception_fp_denorm_src 0
		.amdhsa_exception_fp_ieee_div_zero 0
		.amdhsa_exception_fp_ieee_overflow 0
		.amdhsa_exception_fp_ieee_underflow 0
		.amdhsa_exception_fp_ieee_inexact 0
		.amdhsa_exception_int_div_zero 0
	.end_amdhsa_kernel
	.text
.Lfunc_end0:
	.size	fft_rtc_fwd_len2000_factors_5_5_5_16_wgs_125_tpt_125_halfLds_half_op_CI_CI_unitstride_sbrr_C2R_dirReg, .Lfunc_end0-fft_rtc_fwd_len2000_factors_5_5_5_16_wgs_125_tpt_125_halfLds_half_op_CI_CI_unitstride_sbrr_C2R_dirReg
                                        ; -- End function
	.section	.AMDGPU.csdata,"",@progbits
; Kernel info:
; codeLenInByte = 13040
; NumSgprs: 29
; NumVgprs: 98
; ScratchSize: 0
; MemoryBound: 0
; FloatMode: 240
; IeeeMode: 1
; LDSByteSize: 0 bytes/workgroup (compile time only)
; SGPRBlocks: 3
; VGPRBlocks: 12
; NumSGPRsForWavesPerEU: 29
; NumVGPRsForWavesPerEU: 98
; Occupancy: 9
; WaveLimiterHint : 1
; COMPUTE_PGM_RSRC2:SCRATCH_EN: 0
; COMPUTE_PGM_RSRC2:USER_SGPR: 6
; COMPUTE_PGM_RSRC2:TRAP_HANDLER: 0
; COMPUTE_PGM_RSRC2:TGID_X_EN: 1
; COMPUTE_PGM_RSRC2:TGID_Y_EN: 0
; COMPUTE_PGM_RSRC2:TGID_Z_EN: 0
; COMPUTE_PGM_RSRC2:TIDIG_COMP_CNT: 0
	.text
	.p2alignl 6, 3214868480
	.fill 48, 4, 3214868480
	.type	__hip_cuid_efb1fa4f2e5a00d8,@object ; @__hip_cuid_efb1fa4f2e5a00d8
	.section	.bss,"aw",@nobits
	.globl	__hip_cuid_efb1fa4f2e5a00d8
__hip_cuid_efb1fa4f2e5a00d8:
	.byte	0                               ; 0x0
	.size	__hip_cuid_efb1fa4f2e5a00d8, 1

	.ident	"AMD clang version 19.0.0git (https://github.com/RadeonOpenCompute/llvm-project roc-6.4.0 25133 c7fe45cf4b819c5991fe208aaa96edf142730f1d)"
	.section	".note.GNU-stack","",@progbits
	.addrsig
	.addrsig_sym __hip_cuid_efb1fa4f2e5a00d8
	.amdgpu_metadata
---
amdhsa.kernels:
  - .args:
      - .actual_access:  read_only
        .address_space:  global
        .offset:         0
        .size:           8
        .value_kind:     global_buffer
      - .offset:         8
        .size:           8
        .value_kind:     by_value
      - .actual_access:  read_only
        .address_space:  global
        .offset:         16
        .size:           8
        .value_kind:     global_buffer
      - .actual_access:  read_only
        .address_space:  global
        .offset:         24
        .size:           8
        .value_kind:     global_buffer
      - .actual_access:  read_only
        .address_space:  global
        .offset:         32
        .size:           8
        .value_kind:     global_buffer
      - .offset:         40
        .size:           8
        .value_kind:     by_value
      - .actual_access:  read_only
        .address_space:  global
        .offset:         48
        .size:           8
        .value_kind:     global_buffer
      - .actual_access:  read_only
        .address_space:  global
        .offset:         56
        .size:           8
        .value_kind:     global_buffer
      - .offset:         64
        .size:           4
        .value_kind:     by_value
      - .actual_access:  read_only
        .address_space:  global
        .offset:         72
        .size:           8
        .value_kind:     global_buffer
      - .actual_access:  read_only
        .address_space:  global
        .offset:         80
        .size:           8
        .value_kind:     global_buffer
      - .actual_access:  read_only
        .address_space:  global
        .offset:         88
        .size:           8
        .value_kind:     global_buffer
      - .actual_access:  write_only
        .address_space:  global
        .offset:         96
        .size:           8
        .value_kind:     global_buffer
    .group_segment_fixed_size: 0
    .kernarg_segment_align: 8
    .kernarg_segment_size: 104
    .language:       OpenCL C
    .language_version:
      - 2
      - 0
    .max_flat_workgroup_size: 125
    .name:           fft_rtc_fwd_len2000_factors_5_5_5_16_wgs_125_tpt_125_halfLds_half_op_CI_CI_unitstride_sbrr_C2R_dirReg
    .private_segment_fixed_size: 0
    .sgpr_count:     29
    .sgpr_spill_count: 0
    .symbol:         fft_rtc_fwd_len2000_factors_5_5_5_16_wgs_125_tpt_125_halfLds_half_op_CI_CI_unitstride_sbrr_C2R_dirReg.kd
    .uniform_work_group_size: 1
    .uses_dynamic_stack: false
    .vgpr_count:     98
    .vgpr_spill_count: 0
    .wavefront_size: 32
    .workgroup_processor_mode: 1
amdhsa.target:   amdgcn-amd-amdhsa--gfx1030
amdhsa.version:
  - 1
  - 2
...

	.end_amdgpu_metadata
